;; amdgpu-corpus repo=ROCm/composable_kernel kind=compiled arch=gfx950 opt=O3
	.amdgcn_target "amdgcn-amd-amdhsa--gfx950"
	.amdhsa_code_object_version 6
	.section	.text._ZN2ckL12flush_icacheEv,"axG",@progbits,_ZN2ckL12flush_icacheEv,comdat
	.globl	_ZN2ckL12flush_icacheEv         ; -- Begin function _ZN2ckL12flush_icacheEv
	.p2align	8
	.type	_ZN2ckL12flush_icacheEv,@function
_ZN2ckL12flush_icacheEv:                ; @_ZN2ckL12flush_icacheEv
; %bb.0:
	;;#ASMSTART
	s_icache_inv 
	s_nop 0 
	s_nop 0 
	;; [unrolled: 1-line block ×16, first 2 shown]
	
	;;#ASMEND
	s_endpgm
	.section	.rodata,"a",@progbits
	.p2align	6, 0x0
	.amdhsa_kernel _ZN2ckL12flush_icacheEv
		.amdhsa_group_segment_fixed_size 0
		.amdhsa_private_segment_fixed_size 0
		.amdhsa_kernarg_size 0
		.amdhsa_user_sgpr_count 0
		.amdhsa_user_sgpr_dispatch_ptr 0
		.amdhsa_user_sgpr_queue_ptr 0
		.amdhsa_user_sgpr_kernarg_segment_ptr 0
		.amdhsa_user_sgpr_dispatch_id 0
		.amdhsa_user_sgpr_kernarg_preload_length 0
		.amdhsa_user_sgpr_kernarg_preload_offset 0
		.amdhsa_user_sgpr_private_segment_size 0
		.amdhsa_uses_dynamic_stack 0
		.amdhsa_enable_private_segment 0
		.amdhsa_system_sgpr_workgroup_id_x 1
		.amdhsa_system_sgpr_workgroup_id_y 0
		.amdhsa_system_sgpr_workgroup_id_z 0
		.amdhsa_system_sgpr_workgroup_info 0
		.amdhsa_system_vgpr_workitem_id 0
		.amdhsa_next_free_vgpr 1
		.amdhsa_next_free_sgpr 0
		.amdhsa_accum_offset 4
		.amdhsa_reserve_vcc 0
		.amdhsa_float_round_mode_32 0
		.amdhsa_float_round_mode_16_64 0
		.amdhsa_float_denorm_mode_32 3
		.amdhsa_float_denorm_mode_16_64 3
		.amdhsa_dx10_clamp 1
		.amdhsa_ieee_mode 1
		.amdhsa_fp16_overflow 0
		.amdhsa_tg_split 0
		.amdhsa_exception_fp_ieee_invalid_op 0
		.amdhsa_exception_fp_denorm_src 0
		.amdhsa_exception_fp_ieee_div_zero 0
		.amdhsa_exception_fp_ieee_overflow 0
		.amdhsa_exception_fp_ieee_underflow 0
		.amdhsa_exception_fp_ieee_inexact 0
		.amdhsa_exception_int_div_zero 0
	.end_amdhsa_kernel
	.section	.text._ZN2ckL12flush_icacheEv,"axG",@progbits,_ZN2ckL12flush_icacheEv,comdat
.Lfunc_end0:
	.size	_ZN2ckL12flush_icacheEv, .Lfunc_end0-_ZN2ckL12flush_icacheEv
                                        ; -- End function
	.set _ZN2ckL12flush_icacheEv.num_vgpr, 0
	.set _ZN2ckL12flush_icacheEv.num_agpr, 0
	.set _ZN2ckL12flush_icacheEv.numbered_sgpr, 0
	.set _ZN2ckL12flush_icacheEv.num_named_barrier, 0
	.set _ZN2ckL12flush_icacheEv.private_seg_size, 0
	.set _ZN2ckL12flush_icacheEv.uses_vcc, 0
	.set _ZN2ckL12flush_icacheEv.uses_flat_scratch, 0
	.set _ZN2ckL12flush_icacheEv.has_dyn_sized_stack, 0
	.set _ZN2ckL12flush_icacheEv.has_recursion, 0
	.set _ZN2ckL12flush_icacheEv.has_indirect_call, 0
	.section	.AMDGPU.csdata,"",@progbits
; Kernel info:
; codeLenInByte = 276
; TotalNumSgprs: 6
; NumVgprs: 0
; NumAgprs: 0
; TotalNumVgprs: 0
; ScratchSize: 0
; MemoryBound: 0
; FloatMode: 240
; IeeeMode: 1
; LDSByteSize: 0 bytes/workgroup (compile time only)
; SGPRBlocks: 0
; VGPRBlocks: 0
; NumSGPRsForWavesPerEU: 6
; NumVGPRsForWavesPerEU: 1
; AccumOffset: 4
; Occupancy: 8
; WaveLimiterHint : 0
; COMPUTE_PGM_RSRC2:SCRATCH_EN: 0
; COMPUTE_PGM_RSRC2:USER_SGPR: 0
; COMPUTE_PGM_RSRC2:TRAP_HANDLER: 0
; COMPUTE_PGM_RSRC2:TGID_X_EN: 1
; COMPUTE_PGM_RSRC2:TGID_Y_EN: 0
; COMPUTE_PGM_RSRC2:TGID_Z_EN: 0
; COMPUTE_PGM_RSRC2:TIDIG_COMP_CNT: 0
; COMPUTE_PGM_RSRC3_GFX90A:ACCUM_OFFSET: 0
; COMPUTE_PGM_RSRC3_GFX90A:TG_SPLIT: 0
	.section	.text._ZN2ck23kernel_gemm_xdlops_v2r3INS_43GridwiseGemm_k0mk1_k0nk1_mn_xdlops_v2r3_extILi256EdddLNS_25InMemoryDataOperationEnumE0ENS_13tensor_layout4gemm8RowMajorENS4_11ColumnMajorES5_NS_16tensor_operation12element_wise11PassThroughES9_S9_LNS7_6device18GemmSpecializationE0ELi128ELi128ELi4ELi16ELi16ELi2ELi4ELi4ENS_8SequenceIJLi4ELi64ELi1EEEENSC_IJLi1ELi0ELi2EEEESE_Li2ELi2ELi2ELb0ELb1ESD_SE_SE_Li2ELi2ELi2ELb0ELb1ENSC_IJLi0ELi2ELi4ELi5ELi6ELi1ELi3ELi7EEEELi7ELi1ELi1ELNS_13LoopSchedulerE0ELNS_15PipelineVersionE0EEELb1EEEvNT_8ArgumentE,"axG",@progbits,_ZN2ck23kernel_gemm_xdlops_v2r3INS_43GridwiseGemm_k0mk1_k0nk1_mn_xdlops_v2r3_extILi256EdddLNS_25InMemoryDataOperationEnumE0ENS_13tensor_layout4gemm8RowMajorENS4_11ColumnMajorES5_NS_16tensor_operation12element_wise11PassThroughES9_S9_LNS7_6device18GemmSpecializationE0ELi128ELi128ELi4ELi16ELi16ELi2ELi4ELi4ENS_8SequenceIJLi4ELi64ELi1EEEENSC_IJLi1ELi0ELi2EEEESE_Li2ELi2ELi2ELb0ELb1ESD_SE_SE_Li2ELi2ELi2ELb0ELb1ENSC_IJLi0ELi2ELi4ELi5ELi6ELi1ELi3ELi7EEEELi7ELi1ELi1ELNS_13LoopSchedulerE0ELNS_15PipelineVersionE0EEELb1EEEvNT_8ArgumentE,comdat
	.protected	_ZN2ck23kernel_gemm_xdlops_v2r3INS_43GridwiseGemm_k0mk1_k0nk1_mn_xdlops_v2r3_extILi256EdddLNS_25InMemoryDataOperationEnumE0ENS_13tensor_layout4gemm8RowMajorENS4_11ColumnMajorES5_NS_16tensor_operation12element_wise11PassThroughES9_S9_LNS7_6device18GemmSpecializationE0ELi128ELi128ELi4ELi16ELi16ELi2ELi4ELi4ENS_8SequenceIJLi4ELi64ELi1EEEENSC_IJLi1ELi0ELi2EEEESE_Li2ELi2ELi2ELb0ELb1ESD_SE_SE_Li2ELi2ELi2ELb0ELb1ENSC_IJLi0ELi2ELi4ELi5ELi6ELi1ELi3ELi7EEEELi7ELi1ELi1ELNS_13LoopSchedulerE0ELNS_15PipelineVersionE0EEELb1EEEvNT_8ArgumentE ; -- Begin function _ZN2ck23kernel_gemm_xdlops_v2r3INS_43GridwiseGemm_k0mk1_k0nk1_mn_xdlops_v2r3_extILi256EdddLNS_25InMemoryDataOperationEnumE0ENS_13tensor_layout4gemm8RowMajorENS4_11ColumnMajorES5_NS_16tensor_operation12element_wise11PassThroughES9_S9_LNS7_6device18GemmSpecializationE0ELi128ELi128ELi4ELi16ELi16ELi2ELi4ELi4ENS_8SequenceIJLi4ELi64ELi1EEEENSC_IJLi1ELi0ELi2EEEESE_Li2ELi2ELi2ELb0ELb1ESD_SE_SE_Li2ELi2ELi2ELb0ELb1ENSC_IJLi0ELi2ELi4ELi5ELi6ELi1ELi3ELi7EEEELi7ELi1ELi1ELNS_13LoopSchedulerE0ELNS_15PipelineVersionE0EEELb1EEEvNT_8ArgumentE
	.globl	_ZN2ck23kernel_gemm_xdlops_v2r3INS_43GridwiseGemm_k0mk1_k0nk1_mn_xdlops_v2r3_extILi256EdddLNS_25InMemoryDataOperationEnumE0ENS_13tensor_layout4gemm8RowMajorENS4_11ColumnMajorES5_NS_16tensor_operation12element_wise11PassThroughES9_S9_LNS7_6device18GemmSpecializationE0ELi128ELi128ELi4ELi16ELi16ELi2ELi4ELi4ENS_8SequenceIJLi4ELi64ELi1EEEENSC_IJLi1ELi0ELi2EEEESE_Li2ELi2ELi2ELb0ELb1ESD_SE_SE_Li2ELi2ELi2ELb0ELb1ENSC_IJLi0ELi2ELi4ELi5ELi6ELi1ELi3ELi7EEEELi7ELi1ELi1ELNS_13LoopSchedulerE0ELNS_15PipelineVersionE0EEELb1EEEvNT_8ArgumentE
	.p2align	8
	.type	_ZN2ck23kernel_gemm_xdlops_v2r3INS_43GridwiseGemm_k0mk1_k0nk1_mn_xdlops_v2r3_extILi256EdddLNS_25InMemoryDataOperationEnumE0ENS_13tensor_layout4gemm8RowMajorENS4_11ColumnMajorES5_NS_16tensor_operation12element_wise11PassThroughES9_S9_LNS7_6device18GemmSpecializationE0ELi128ELi128ELi4ELi16ELi16ELi2ELi4ELi4ENS_8SequenceIJLi4ELi64ELi1EEEENSC_IJLi1ELi0ELi2EEEESE_Li2ELi2ELi2ELb0ELb1ESD_SE_SE_Li2ELi2ELi2ELb0ELb1ENSC_IJLi0ELi2ELi4ELi5ELi6ELi1ELi3ELi7EEEELi7ELi1ELi1ELNS_13LoopSchedulerE0ELNS_15PipelineVersionE0EEELb1EEEvNT_8ArgumentE,@function
_ZN2ck23kernel_gemm_xdlops_v2r3INS_43GridwiseGemm_k0mk1_k0nk1_mn_xdlops_v2r3_extILi256EdddLNS_25InMemoryDataOperationEnumE0ENS_13tensor_layout4gemm8RowMajorENS4_11ColumnMajorES5_NS_16tensor_operation12element_wise11PassThroughES9_S9_LNS7_6device18GemmSpecializationE0ELi128ELi128ELi4ELi16ELi16ELi2ELi4ELi4ENS_8SequenceIJLi4ELi64ELi1EEEENSC_IJLi1ELi0ELi2EEEESE_Li2ELi2ELi2ELb0ELb1ESD_SE_SE_Li2ELi2ELi2ELb0ELb1ENSC_IJLi0ELi2ELi4ELi5ELi6ELi1ELi3ELi7EEEELi7ELi1ELi1ELNS_13LoopSchedulerE0ELNS_15PipelineVersionE0EEELb1EEEvNT_8ArgumentE: ; @_ZN2ck23kernel_gemm_xdlops_v2r3INS_43GridwiseGemm_k0mk1_k0nk1_mn_xdlops_v2r3_extILi256EdddLNS_25InMemoryDataOperationEnumE0ENS_13tensor_layout4gemm8RowMajorENS4_11ColumnMajorES5_NS_16tensor_operation12element_wise11PassThroughES9_S9_LNS7_6device18GemmSpecializationE0ELi128ELi128ELi4ELi16ELi16ELi2ELi4ELi4ENS_8SequenceIJLi4ELi64ELi1EEEENSC_IJLi1ELi0ELi2EEEESE_Li2ELi2ELi2ELb0ELb1ESD_SE_SE_Li2ELi2ELi2ELb0ELb1ENSC_IJLi0ELi2ELi4ELi5ELi6ELi1ELi3ELi7EEEELi7ELi1ELi1ELNS_13LoopSchedulerE0ELNS_15PipelineVersionE0EEELb1EEEvNT_8ArgumentE
; %bb.0:
	s_load_dwordx4 s[4:7], s[0:1], 0x10
	s_load_dwordx2 s[20:21], s[0:1], 0x20
	s_load_dwordx4 s[12:15], s[0:1], 0x38
	s_load_dword s23, s[0:1], 0x30
	v_and_b32_e32 v20, 3, v0
	s_waitcnt lgkmcnt(0)
	s_add_i32 s3, s4, 0x7f
	s_ashr_i32 s9, s3, 31
	s_add_i32 s8, s5, 0x7f
	s_lshr_b32 s9, s9, 25
	s_add_i32 s3, s3, s9
	s_ashr_i32 s9, s8, 31
	s_lshr_b32 s9, s9, 25
	s_add_i32 s8, s8, s9
	s_ashr_i32 s3, s3, 7
	s_ashr_i32 s8, s8, 7
	s_mul_i32 s9, s8, s3
	s_abs_i32 s9, s9
	v_cvt_f32_u32_e32 v1, s9
	s_add_i32 s22, s4, -1
	s_mul_i32 s4, s22, s7
	s_add_u32 s10, s4, s6
	v_rcp_iflag_f32_e32 v1, v1
	s_add_i32 s4, s5, -1
	s_mul_i32 s4, s4, s20
	s_add_u32 s16, s4, s6
	v_mul_f32_e32 v1, 0x4f7ffffe, v1
	v_cvt_u32_f32_e32 v1, v1
	s_sub_i32 s6, 0, s9
	s_ashr_i32 s4, s2, 31
	s_abs_i32 s2, s2
	v_readfirstlane_b32 s11, v1
	s_mul_i32 s6, s6, s11
	s_mul_hi_u32 s6, s11, s6
	s_add_i32 s11, s11, s6
	s_mul_hi_u32 s6, s2, s11
	s_mul_i32 s6, s6, s9
	s_sub_i32 s2, s2, s6
	s_sub_i32 s6, s2, s9
	s_cmp_ge_u32 s2, s9
	s_cselect_b32 s2, s6, s2
	s_sub_i32 s6, s2, s9
	s_cmp_ge_u32 s2, s9
	s_cselect_b32 s2, s6, s2
	s_abs_i32 s6, s8
	v_cvt_f32_u32_e32 v1, s6
	s_sub_i32 s11, 0, s6
	s_xor_b32 s2, s2, s4
	s_sub_i32 s2, s2, s4
	v_rcp_iflag_f32_e32 v1, v1
	s_abs_i32 s9, s2
	s_xor_b32 s4, s2, s8
	s_ashr_i32 s4, s4, 31
	v_mul_f32_e32 v1, 0x4f7ffffe, v1
	v_cvt_u32_f32_e32 v1, v1
	v_lshlrev_b32_e32 v22, 1, v20
	v_lshlrev_b32_e32 v27, 2, v0
	v_lshrrev_b32_e32 v144, 7, v0
	v_readfirstlane_b32 s17, v1
	s_mul_i32 s11, s11, s17
	s_mul_hi_u32 s11, s17, s11
	s_add_i32 s17, s17, s11
	s_mul_hi_u32 s11, s9, s17
	s_mul_i32 s17, s11, s6
	s_sub_i32 s9, s9, s17
	s_add_i32 s17, s11, 1
	s_sub_i32 s18, s9, s6
	s_cmp_ge_u32 s9, s6
	s_cselect_b32 s11, s17, s11
	s_cselect_b32 s9, s18, s9
	s_add_i32 s17, s11, 1
	s_cmp_ge_u32 s9, s6
	s_cselect_b32 s6, s17, s11
	s_xor_b32 s6, s6, s4
	s_sub_i32 s4, s6, s4
	s_lshr_b32 s6, s3, 29
	s_add_i32 s6, s3, s6
	s_and_b32 s6, s6, -8
	s_sub_i32 s3, s3, s6
	s_cmp_ge_i32 s4, s6
	s_cselect_b32 s3, s3, 8
	s_abs_i32 s9, s3
	v_cvt_f32_u32_e32 v1, s9
	s_mul_i32 s6, s4, s8
	s_sub_i32 s2, s2, s6
	s_ashr_i32 s6, s4, 31
	v_rcp_iflag_f32_e32 v1, v1
	s_lshr_b32 s6, s6, 29
	s_add_i32 s6, s4, s6
	s_and_b32 s6, s6, -8
	v_mul_f32_e32 v1, 0x4f7ffffe, v1
	v_cvt_u32_f32_e32 v1, v1
	s_sub_i32 s4, s4, s6
	s_sub_i32 s11, 0, s9
	s_mul_i32 s4, s4, s8
	v_readfirstlane_b32 s17, v1
	s_mul_i32 s11, s11, s17
	s_add_i32 s2, s4, s2
	s_mul_hi_u32 s11, s17, s11
	s_abs_i32 s8, s2
	s_add_i32 s17, s17, s11
	s_mul_hi_u32 s11, s8, s17
	s_mul_i32 s17, s11, s9
	s_xor_b32 s4, s2, s3
	s_sub_i32 s8, s8, s17
	s_ashr_i32 s4, s4, 31
	s_add_i32 s17, s11, 1
	s_sub_i32 s18, s8, s9
	s_cmp_ge_u32 s8, s9
	s_cselect_b32 s11, s17, s11
	s_cselect_b32 s8, s18, s8
	s_add_i32 s17, s11, 1
	s_cmp_ge_u32 s8, s9
	s_cselect_b32 s8, s17, s11
	s_xor_b32 s8, s8, s4
	s_sub_i32 s4, s8, s4
	s_mul_i32 s3, s4, s3
	v_lshrrev_b32_e32 v1, 1, v0
	s_sub_i32 s2, s2, s3
	v_and_b32_e32 v21, 0x7e, v1
	s_add_i32 s6, s6, s2
	v_lshl_or_b32 v2, s4, 7, v21
	v_lshl_or_b32 v1, s6, 7, v21
	v_mul_lo_u32 v24, v2, s20
	v_mul_lo_u32 v23, v1, s7
	v_add_u32_e32 v2, v24, v22
	s_mov_b32 s11, 0x20000
	s_lshl_b32 s2, s16, 3
	v_add_u32_e32 v1, v23, v22
	s_and_b32 s17, s15, 0xffff
	s_mov_b32 s16, s14
	s_mov_b32 s18, s2
	;; [unrolled: 1-line block ×3, first 2 shown]
	v_lshlrev_b32_e32 v26, 3, v2
	s_lshl_b32 s10, s10, 3
	s_and_b32 s9, s13, 0xffff
	s_mov_b32 s8, s12
	v_lshlrev_b32_e32 v25, 3, v1
	v_add_lshl_u32 v1, v1, s7, 3
	v_add_lshl_u32 v2, v2, s20, 3
	buffer_load_dwordx4 v[4:7], v26, s[16:19], 0 offen
	buffer_load_dwordx4 v[8:11], v2, s[16:19], 0 offen
	;; [unrolled: 1-line block ×4, first 2 shown]
	s_load_dwordx2 s[18:19], s[0:1], 0x48
	v_and_b32_e32 v1, 15, v0
	s_getpc_b64 s[0:1]
	s_add_u32 s0, s0, _ZN2ck51BlockwiseGemmXdlops_k0mk1_k0nk1_m0n0m1n1m2m3m4n2_v1ILi256EdddKNS_16TensorDescriptorINS_5TupleIJNS_5EmbedINS2_IJNS_17integral_constantIiLi4EEENS4_IiLi128EEENS4_IiLi2EEEEEENS2_IJNS4_IiLi258EEES7_NS4_IiLi1EEEEEELb0EEEEEENS2_IJNS_8SequenceIJLi0EEEEEEENS2_IJNSE_IJLi1ELi2ELi3EEEEEEESH_NS4_IlLl1030EEEEESL_Li16ELi16ELi4ELi4ELi2EddE6MWavesE@rel32@lo+4
	s_addc_u32 s1, s1, _ZN2ck51BlockwiseGemmXdlops_k0mk1_k0nk1_m0n0m1n1m2m3m4n2_v1ILi256EdddKNS_16TensorDescriptorINS_5TupleIJNS_5EmbedINS2_IJNS_17integral_constantIiLi4EEENS4_IiLi128EEENS4_IiLi2EEEEEENS2_IJNS4_IiLi258EEES7_NS4_IiLi1EEEEEELb0EEEEEENS2_IJNS_8SequenceIJLi0EEEEEEENS2_IJNSE_IJLi1ELi2ELi3EEEEEEESH_NS4_IlLl1030EEEEESL_Li16ELi16ELi4ELi4ELi2EddE6MWavesE@rel32@hi+12
	s_movk_i32 s8, 0x100
	v_lshlrev_b32_e32 v29, 4, v1
	s_getpc_b64 s[24:25]
	s_add_u32 s24, s24, _ZN2ck51BlockwiseGemmXdlops_k0mk1_k0nk1_m0n0m1n1m2m3m4n2_v1ILi256EdddKNS_16TensorDescriptorINS_5TupleIJNS_5EmbedINS2_IJNS_17integral_constantIiLi4EEENS4_IiLi128EEENS4_IiLi2EEEEEENS2_IJNS4_IiLi258EEES7_NS4_IiLi1EEEEEELb0EEEEEENS2_IJNS_8SequenceIJLi0EEEEEEENS2_IJNSE_IJLi1ELi2ELi3EEEEEEESH_NS4_IlLl1030EEEEESL_Li16ELi16ELi4ELi4ELi2EddE6NWavesE@rel32@lo+4
	s_addc_u32 s25, s25, _ZN2ck51BlockwiseGemmXdlops_k0mk1_k0nk1_m0n0m1n1m2m3m4n2_v1ILi256EdddKNS_16TensorDescriptorINS_5TupleIJNS_5EmbedINS2_IJNS_17integral_constantIiLi4EEENS4_IiLi128EEENS4_IiLi2EEEEEENS2_IJNS4_IiLi258EEES7_NS4_IiLi1EEEEEELb0EEEEEENS2_IJNS_8SequenceIJLi0EEEEEEENS2_IJNSE_IJLi1ELi2ELi3EEEEEEESH_NS4_IlLl1030EEEEESL_Li16ELi16ELi4ELi4ELi2EddE6NWavesE@rel32@hi+12
	v_and_or_b32 v27, v27, s8, v29
	s_ashr_i32 s8, s23, 31
	s_load_dword s13, s[0:1], 0x0
	s_load_dword s15, s[24:25], 0x0
	s_lshr_b32 s0, s8, 30
	v_bfe_u32 v142, v0, 4, 2
	v_mul_u32_u24_e32 v20, 0x102, v20
	v_lshlrev_b32_e32 v21, 1, v21
	s_add_i32 s23, s23, s0
	v_lshlrev_b32_e32 v143, 4, v144
	v_mul_u32_u24_e32 v28, 0x102, v142
	v_add_lshl_u32 v140, v21, v20, 3
	s_ashr_i32 s0, s23, 2
	v_add3_u32 v20, v24, s20, v22
	v_mov_b64_e32 v[2:3], 0
	v_or_b32_e32 v30, v143, v1
	v_lshlrev_b32_e32 v28, 3, v28
	s_max_i32 s0, s0, 2
	v_lshl_add_u32 v141, v20, 3, 64
	v_add3_u32 v20, v23, s7, v22
	s_mov_b32 s3, s11
	v_lshl_add_u32 v138, v30, 4, v28
	v_add_u32_e32 v139, v27, v28
	s_add_i32 s16, s0, -1
	v_add_u32_e32 v145, 64, v26
	v_lshl_add_u32 v146, v20, 3, 64
	v_add_u32_e32 v147, 64, v25
	s_mov_b32 s8, s12
	s_mov_b32 s0, s14
	;; [unrolled: 1-line block ×3, first 2 shown]
	v_mov_b64_e32 v[26:27], v[2:3]
	v_mov_b64_e32 v[28:29], v[2:3]
	;; [unrolled: 1-line block ×13, first 2 shown]
	s_waitcnt vmcnt(3)
	ds_write_b128 v140, v[4:7] offset:8240
	s_waitcnt vmcnt(2)
	ds_write_b128 v140, v[8:11] offset:8256
	s_waitcnt vmcnt(1)
	ds_write_b128 v140, v[12:15]
	s_waitcnt vmcnt(0)
	ds_write_b128 v140, v[16:19] offset:16
	v_mov_b64_e32 v[4:5], v[2:3]
	v_mov_b64_e32 v[6:7], v[2:3]
	;; [unrolled: 1-line block ×50, first 2 shown]
.LBB1_1:                                ; =>This Inner Loop Header: Depth=1
	buffer_load_dwordx4 v[130:133], v147, s[8:11], 0 offen
	buffer_load_dwordx4 v[134:137], v146, s[8:11], 0 offen
	s_waitcnt lgkmcnt(0)
	s_barrier
	ds_read_b128 v[148:151], v138
	ds_read_b128 v[152:155], v139 offset:8240
	ds_read_b128 v[156:159], v139 offset:8752
	;; [unrolled: 1-line block ×4, first 2 shown]
	s_add_i32 s16, s16, -1
	s_waitcnt lgkmcnt(3)
	v_mfma_f64_16x16x4_f64 v[98:105], v[148:149], v[152:153], v[98:105]
	s_cmp_lg_u32 s16, 0
	v_add_u32_e32 v147, 64, v147
	v_add_u32_e32 v146, 64, v146
	s_waitcnt lgkmcnt(2)
	v_mfma_f64_16x16x4_f64 v[106:113], v[148:149], v[156:157], v[106:113]
	s_waitcnt lgkmcnt(1)
	v_mfma_f64_16x16x4_f64 v[114:121], v[148:149], v[160:161], v[114:121]
	;; [unrolled: 2-line block ×3, first 2 shown]
	v_mfma_f64_16x16x4_f64 v[98:105], v[150:151], v[154:155], v[98:105]
	v_mfma_f64_16x16x4_f64 v[106:113], v[150:151], v[158:159], v[106:113]
	v_mfma_f64_16x16x4_f64 v[114:121], v[150:151], v[162:163], v[114:121]
	v_mfma_f64_16x16x4_f64 v[122:129], v[150:151], v[166:167], v[122:129]
	ds_read_b128 v[148:151], v138 offset:512
	s_waitcnt lgkmcnt(0)
	v_mfma_f64_16x16x4_f64 v[66:73], v[148:149], v[152:153], v[66:73]
	v_mfma_f64_16x16x4_f64 v[74:81], v[148:149], v[156:157], v[74:81]
	v_mfma_f64_16x16x4_f64 v[82:89], v[148:149], v[160:161], v[82:89]
	v_mfma_f64_16x16x4_f64 v[90:97], v[148:149], v[164:165], v[90:97]
	v_mfma_f64_16x16x4_f64 v[66:73], v[150:151], v[154:155], v[66:73]
	v_mfma_f64_16x16x4_f64 v[74:81], v[150:151], v[158:159], v[74:81]
	v_mfma_f64_16x16x4_f64 v[82:89], v[150:151], v[162:163], v[82:89]
	v_mfma_f64_16x16x4_f64 v[90:97], v[150:151], v[166:167], v[90:97]
	ds_read_b128 v[148:151], v138 offset:1024
	s_waitcnt lgkmcnt(0)
	v_mfma_f64_16x16x4_f64 v[34:41], v[148:149], v[152:153], v[34:41]
	v_mfma_f64_16x16x4_f64 v[42:49], v[148:149], v[156:157], v[42:49]
	v_mfma_f64_16x16x4_f64 v[50:57], v[148:149], v[160:161], v[50:57]
	v_mfma_f64_16x16x4_f64 v[58:65], v[148:149], v[164:165], v[58:65]
	;; [unrolled: 10-line block ×3, first 2 shown]
	v_mfma_f64_16x16x4_f64 v[10:17], v[150:151], v[154:155], v[10:17]
	buffer_load_dwordx4 v[152:155], v145, s[0:3], 0 offen
	v_mfma_f64_16x16x4_f64 v[18:25], v[150:151], v[158:159], v[18:25]
	v_mfma_f64_16x16x4_f64 v[26:33], v[150:151], v[162:163], v[26:33]
	v_mfma_f64_16x16x4_f64 v[2:9], v[150:151], v[166:167], v[2:9]
	buffer_load_dwordx4 v[148:151], v141, s[0:3], 0 offen
	s_waitcnt lgkmcnt(0)
	s_barrier
	s_waitcnt vmcnt(3)
	ds_write_b128 v140, v[130:133]
	s_waitcnt vmcnt(2)
	ds_write_b128 v140, v[134:137] offset:16
	s_waitcnt vmcnt(1)
	ds_write_b128 v140, v[152:155] offset:8240
	;; [unrolled: 2-line block ×3, first 2 shown]
	v_add_u32_e32 v145, 64, v145
	v_add_u32_e32 v141, 64, v141
	s_cbranch_scc1 .LBB1_1
; %bb.2:
	s_waitcnt lgkmcnt(0)
	s_barrier
	ds_read_b128 v[146:149], v138
	ds_read_b128 v[150:153], v139 offset:8240
	ds_read_b128 v[154:157], v139 offset:8752
	;; [unrolled: 1-line block ×5, first 2 shown]
	s_mul_i32 s0, s22, s21
	s_mul_hi_u32 s1, 0, s21
	s_waitcnt lgkmcnt(2)
	v_mfma_f64_16x16x4_f64 v[66:73], v[158:159], v[150:151], v[66:73]
	s_add_i32 s1, s1, s0
	s_add_u32 s0, s1, s5
	s_lshl_b32 s1, s6, 2
	s_lshl_b32 s7, s13, 4
	s_and_b32 s1, s1, 0x7fffffc
	s_mul_i32 s1, s1, s7
	s_lshl_b32 s5, s15, 4
	s_lshl_b32 s2, s0, 3
	s_mov_b32 s3, 0x20000
	v_mfma_f64_16x16x4_f64 v[98:105], v[146:147], v[150:151], v[98:105]
	s_mov_b32 s0, s18
	ds_read_b128 v[162:165], v138 offset:1024
	s_mul_i32 s7, s7, s21
	ds_read_b128 v[138:141], v138 offset:1536
	v_lshrrev_b32_e32 v0, 2, v0
	v_lshlrev_b32_e32 v144, 5, v144
	v_sub_u32_e32 v144, v0, v144
	v_lshl_add_u32 v144, s4, 7, v144
	s_lshl_b32 s4, s21, 2
	v_and_b32_e32 v143, 16, v143
	v_lshrrev_b32_e32 v144, 5, v144
	v_or3_b32 v142, v143, v142, s1
	s_and_b32 s1, s19, 0xffff
	v_mul_lo_u32 v144, v144, s5
	v_mul_lo_u32 v142, v142, s21
	v_and_or_b32 v0, v0, 16, v1
	v_add3_u32 v0, v0, v144, v142
	v_lshlrev_b32_e32 v1, 3, v0
	v_mfma_f64_16x16x4_f64 v[106:113], v[146:147], v[154:155], v[106:113]
	s_waitcnt lgkmcnt(3)
	v_mfma_f64_16x16x4_f64 v[114:121], v[146:147], v[134:135], v[114:121]
	s_waitcnt lgkmcnt(2)
	v_mfma_f64_16x16x4_f64 v[122:129], v[146:147], v[130:131], v[122:129]
	v_mfma_f64_16x16x4_f64 v[98:105], v[148:149], v[152:153], v[98:105]
	;; [unrolled: 1-line block ×6, first 2 shown]
	s_waitcnt lgkmcnt(1)
	v_mfma_f64_16x16x4_f64 v[34:41], v[162:163], v[150:151], v[34:41]
	v_mfma_f64_16x16x4_f64 v[42:49], v[162:163], v[154:155], v[42:49]
	;; [unrolled: 1-line block ×4, first 2 shown]
	s_waitcnt lgkmcnt(0)
	v_mfma_f64_16x16x4_f64 v[10:17], v[138:139], v[150:151], v[10:17]
	v_mfma_f64_16x16x4_f64 v[18:25], v[138:139], v[154:155], v[18:25]
	v_mfma_f64_16x16x4_f64 v[26:33], v[138:139], v[134:135], v[26:33]
	v_mfma_f64_16x16x4_f64 v[2:9], v[138:139], v[130:131], v[2:9]
	v_mfma_f64_16x16x4_f64 v[106:113], v[148:149], v[156:157], v[106:113]
	v_mfma_f64_16x16x4_f64 v[114:121], v[148:149], v[136:137], v[114:121]
	v_mfma_f64_16x16x4_f64 v[122:129], v[148:149], v[132:133], v[122:129]
	s_nop 0
	buffer_store_dwordx2 v[98:99], v1, s[0:3], 0 offen
	v_add_u32_e32 v1, s5, v0
	v_lshlrev_b32_e32 v98, 3, v1
	v_add_u32_e32 v0, s4, v0
	v_mfma_f64_16x16x4_f64 v[74:81], v[160:161], v[156:157], v[74:81]
	v_mfma_f64_16x16x4_f64 v[82:89], v[160:161], v[136:137], v[82:89]
	;; [unrolled: 1-line block ×9, first 2 shown]
	s_nop 1
	buffer_store_dwordx2 v[106:107], v98, s[0:3], 0 offen
	v_add_u32_e32 v98, s5, v1
	v_lshlrev_b32_e32 v99, 3, v98
	buffer_store_dwordx2 v[114:115], v99, s[0:3], 0 offen
	v_add_u32_e32 v99, s5, v98
	v_lshlrev_b32_e32 v106, 3, v99
	;; [unrolled: 3-line block ×5, first 2 shown]
	buffer_store_dwordx2 v[108:109], v106, s[0:3], 0 offen
	v_lshlrev_b32_e32 v106, 3, v0
	buffer_store_dwordx2 v[100:101], v106, s[0:3], 0 offen
	v_add_lshl_u32 v0, v0, s4, 3
	buffer_store_dwordx2 v[102:103], v0, s[0:3], 0 offen
	v_add_lshl_u32 v0, v1, s4, 3
	;; [unrolled: 2-line block ×3, first 2 shown]
	buffer_store_dwordx2 v[118:119], v0, s[0:3], 0 offen
	v_add_u32_e32 v0, s4, v99
	v_lshlrev_b32_e32 v1, 3, v0
	buffer_store_dwordx2 v[126:127], v1, s[0:3], 0 offen
	v_add_u32_e32 v1, s4, v0
	v_lshlrev_b32_e32 v98, 3, v1
	buffer_store_dwordx2 v[128:129], v98, s[0:3], 0 offen
	v_subrev_u32_e32 v98, s5, v1
	v_lshlrev_b32_e32 v99, 3, v98
	buffer_store_dwordx2 v[120:121], v99, s[0:3], 0 offen
	v_subrev_u32_e32 v99, s5, v98
	;; [unrolled: 3-line block ×3, first 2 shown]
	v_lshlrev_b32_e32 v101, 3, v100
	buffer_store_dwordx2 v[104:105], v101, s[0:3], 0 offen
	v_add_lshl_u32 v100, v100, s7, 3
	buffer_store_dwordx2 v[72:73], v100, s[0:3], 0 offen
	v_add_lshl_u32 v72, v99, s7, 3
	;; [unrolled: 2-line block ×3, first 2 shown]
	buffer_store_dwordx2 v[88:89], v72, s[0:3], 0 offen
	v_add_u32_e32 v1, s7, v1
	v_lshlrev_b32_e32 v72, 3, v1
	buffer_store_dwordx2 v[96:97], v72, s[0:3], 0 offen
	v_add_u32_e32 v0, s7, v0
	v_lshlrev_b32_e32 v72, 3, v0
	buffer_store_dwordx2 v[94:95], v72, s[0:3], 0 offen
	v_subrev_u32_e32 v72, s5, v0
	v_lshlrev_b32_e32 v73, 3, v72
	buffer_store_dwordx2 v[86:87], v73, s[0:3], 0 offen
	v_subrev_u32_e32 v72, s5, v72
	;; [unrolled: 3-line block ×4, first 2 shown]
	v_lshlrev_b32_e32 v71, 3, v70
	buffer_store_dwordx2 v[68:69], v71, s[0:3], 0 offen
	v_add_u32_e32 v68, s5, v70
	v_lshlrev_b32_e32 v69, 3, v68
	buffer_store_dwordx2 v[76:77], v69, s[0:3], 0 offen
	v_add_u32_e32 v69, s5, v68
	;; [unrolled: 3-line block ×3, first 2 shown]
	v_lshlrev_b32_e32 v72, 3, v71
	buffer_store_dwordx2 v[92:93], v72, s[0:3], 0 offen
	v_subrev_u32_e32 v72, s4, v71
	v_lshlrev_b32_e32 v73, 3, v72
	buffer_store_dwordx2 v[90:91], v73, s[0:3], 0 offen
	v_subrev_u32_e32 v73, s5, v72
	;; [unrolled: 3-line block ×4, first 2 shown]
	v_lshlrev_b32_e32 v75, 3, v74
	buffer_store_dwordx2 v[66:67], v75, s[0:3], 0 offen
	v_add_lshl_u32 v66, v74, s7, 3
	buffer_store_dwordx2 v[34:35], v66, s[0:3], 0 offen
	v_add_lshl_u32 v34, v76, s7, 3
	;; [unrolled: 2-line block ×5, first 2 shown]
	buffer_store_dwordx2 v[60:61], v34, s[0:3], 0 offen
	v_add_u32_e32 v34, s7, v69
	v_lshlrev_b32_e32 v35, 3, v34
	buffer_store_dwordx2 v[52:53], v35, s[0:3], 0 offen
	v_add_u32_e32 v35, s7, v68
	v_lshlrev_b32_e32 v42, 3, v35
	;; [unrolled: 3-line block ×3, first 2 shown]
	buffer_store_dwordx2 v[36:37], v43, s[0:3], 0 offen
	v_add_lshl_u32 v36, v42, s4, 3
	buffer_store_dwordx2 v[38:39], v36, s[0:3], 0 offen
	v_add_lshl_u32 v35, v35, s4, 3
	;; [unrolled: 2-line block ×4, first 2 shown]
	buffer_store_dwordx2 v[62:63], v0, s[0:3], 0 offen
	v_add_u32_e32 v0, s7, v1
	v_lshlrev_b32_e32 v1, 3, v0
	buffer_store_dwordx2 v[64:65], v1, s[0:3], 0 offen
	v_subrev_u32_e32 v1, s5, v0
	v_lshlrev_b32_e32 v34, 3, v1
	buffer_store_dwordx2 v[56:57], v34, s[0:3], 0 offen
	v_subrev_u32_e32 v34, s5, v1
	;; [unrolled: 3-line block ×3, first 2 shown]
	v_lshlrev_b32_e32 v36, 3, v35
	buffer_store_dwordx2 v[40:41], v36, s[0:3], 0 offen
	v_add_lshl_u32 v35, v35, s7, 3
	buffer_store_dwordx2 v[16:17], v35, s[0:3], 0 offen
	v_add_lshl_u32 v16, v34, s7, 3
	;; [unrolled: 2-line block ×3, first 2 shown]
	v_add_u32_e32 v0, s7, v0
	v_mfma_f64_16x16x4_f64 v[26:33], v[140:141], v[136:137], v[26:33]
	v_mfma_f64_16x16x4_f64 v[2:9], v[140:141], v[132:133], v[2:9]
	s_nop 15
	s_nop 0
	buffer_store_dwordx2 v[32:33], v1, s[0:3], 0 offen
	v_lshlrev_b32_e32 v1, 3, v0
	buffer_store_dwordx2 v[8:9], v1, s[0:3], 0 offen
	v_subrev_u32_e32 v0, s4, v0
	v_lshlrev_b32_e32 v1, 3, v0
	buffer_store_dwordx2 v[6:7], v1, s[0:3], 0 offen
	v_subrev_u32_e32 v0, s5, v0
	;; [unrolled: 3-line block ×5, first 2 shown]
	v_lshlrev_b32_e32 v1, 3, v0
	buffer_store_dwordx2 v[12:13], v1, s[0:3], 0 offen
	v_add_u32_e32 v0, s5, v0
	v_lshlrev_b32_e32 v1, 3, v0
	buffer_store_dwordx2 v[20:21], v1, s[0:3], 0 offen
	v_add_u32_e32 v0, s5, v0
	;; [unrolled: 3-line block ×3, first 2 shown]
	v_lshlrev_b32_e32 v1, 3, v0
	buffer_store_dwordx2 v[4:5], v1, s[0:3], 0 offen
	v_subrev_u32_e32 v0, s4, v0
	v_lshlrev_b32_e32 v1, 3, v0
	buffer_store_dwordx2 v[2:3], v1, s[0:3], 0 offen
	v_subrev_u32_e32 v0, s5, v0
	;; [unrolled: 3-line block ×4, first 2 shown]
	v_lshlrev_b32_e32 v0, 3, v0
	buffer_store_dwordx2 v[10:11], v0, s[0:3], 0 offen
	s_endpgm
	.section	.rodata,"a",@progbits
	.p2align	6, 0x0
	.amdhsa_kernel _ZN2ck23kernel_gemm_xdlops_v2r3INS_43GridwiseGemm_k0mk1_k0nk1_mn_xdlops_v2r3_extILi256EdddLNS_25InMemoryDataOperationEnumE0ENS_13tensor_layout4gemm8RowMajorENS4_11ColumnMajorES5_NS_16tensor_operation12element_wise11PassThroughES9_S9_LNS7_6device18GemmSpecializationE0ELi128ELi128ELi4ELi16ELi16ELi2ELi4ELi4ENS_8SequenceIJLi4ELi64ELi1EEEENSC_IJLi1ELi0ELi2EEEESE_Li2ELi2ELi2ELb0ELb1ESD_SE_SE_Li2ELi2ELi2ELb0ELb1ENSC_IJLi0ELi2ELi4ELi5ELi6ELi1ELi3ELi7EEEELi7ELi1ELi1ELNS_13LoopSchedulerE0ELNS_15PipelineVersionE0EEELb1EEEvNT_8ArgumentE
		.amdhsa_group_segment_fixed_size 16480
		.amdhsa_private_segment_fixed_size 0
		.amdhsa_kernarg_size 80
		.amdhsa_user_sgpr_count 2
		.amdhsa_user_sgpr_dispatch_ptr 0
		.amdhsa_user_sgpr_queue_ptr 0
		.amdhsa_user_sgpr_kernarg_segment_ptr 1
		.amdhsa_user_sgpr_dispatch_id 0
		.amdhsa_user_sgpr_kernarg_preload_length 0
		.amdhsa_user_sgpr_kernarg_preload_offset 0
		.amdhsa_user_sgpr_private_segment_size 0
		.amdhsa_uses_dynamic_stack 0
		.amdhsa_enable_private_segment 0
		.amdhsa_system_sgpr_workgroup_id_x 1
		.amdhsa_system_sgpr_workgroup_id_y 0
		.amdhsa_system_sgpr_workgroup_id_z 0
		.amdhsa_system_sgpr_workgroup_info 0
		.amdhsa_system_vgpr_workitem_id 0
		.amdhsa_next_free_vgpr 168
		.amdhsa_next_free_sgpr 26
		.amdhsa_accum_offset 168
		.amdhsa_reserve_vcc 0
		.amdhsa_float_round_mode_32 0
		.amdhsa_float_round_mode_16_64 0
		.amdhsa_float_denorm_mode_32 3
		.amdhsa_float_denorm_mode_16_64 3
		.amdhsa_dx10_clamp 1
		.amdhsa_ieee_mode 1
		.amdhsa_fp16_overflow 0
		.amdhsa_tg_split 0
		.amdhsa_exception_fp_ieee_invalid_op 0
		.amdhsa_exception_fp_denorm_src 0
		.amdhsa_exception_fp_ieee_div_zero 0
		.amdhsa_exception_fp_ieee_overflow 0
		.amdhsa_exception_fp_ieee_underflow 0
		.amdhsa_exception_fp_ieee_inexact 0
		.amdhsa_exception_int_div_zero 0
	.end_amdhsa_kernel
	.section	.text._ZN2ck23kernel_gemm_xdlops_v2r3INS_43GridwiseGemm_k0mk1_k0nk1_mn_xdlops_v2r3_extILi256EdddLNS_25InMemoryDataOperationEnumE0ENS_13tensor_layout4gemm8RowMajorENS4_11ColumnMajorES5_NS_16tensor_operation12element_wise11PassThroughES9_S9_LNS7_6device18GemmSpecializationE0ELi128ELi128ELi4ELi16ELi16ELi2ELi4ELi4ENS_8SequenceIJLi4ELi64ELi1EEEENSC_IJLi1ELi0ELi2EEEESE_Li2ELi2ELi2ELb0ELb1ESD_SE_SE_Li2ELi2ELi2ELb0ELb1ENSC_IJLi0ELi2ELi4ELi5ELi6ELi1ELi3ELi7EEEELi7ELi1ELi1ELNS_13LoopSchedulerE0ELNS_15PipelineVersionE0EEELb1EEEvNT_8ArgumentE,"axG",@progbits,_ZN2ck23kernel_gemm_xdlops_v2r3INS_43GridwiseGemm_k0mk1_k0nk1_mn_xdlops_v2r3_extILi256EdddLNS_25InMemoryDataOperationEnumE0ENS_13tensor_layout4gemm8RowMajorENS4_11ColumnMajorES5_NS_16tensor_operation12element_wise11PassThroughES9_S9_LNS7_6device18GemmSpecializationE0ELi128ELi128ELi4ELi16ELi16ELi2ELi4ELi4ENS_8SequenceIJLi4ELi64ELi1EEEENSC_IJLi1ELi0ELi2EEEESE_Li2ELi2ELi2ELb0ELb1ESD_SE_SE_Li2ELi2ELi2ELb0ELb1ENSC_IJLi0ELi2ELi4ELi5ELi6ELi1ELi3ELi7EEEELi7ELi1ELi1ELNS_13LoopSchedulerE0ELNS_15PipelineVersionE0EEELb1EEEvNT_8ArgumentE,comdat
.Lfunc_end1:
	.size	_ZN2ck23kernel_gemm_xdlops_v2r3INS_43GridwiseGemm_k0mk1_k0nk1_mn_xdlops_v2r3_extILi256EdddLNS_25InMemoryDataOperationEnumE0ENS_13tensor_layout4gemm8RowMajorENS4_11ColumnMajorES5_NS_16tensor_operation12element_wise11PassThroughES9_S9_LNS7_6device18GemmSpecializationE0ELi128ELi128ELi4ELi16ELi16ELi2ELi4ELi4ENS_8SequenceIJLi4ELi64ELi1EEEENSC_IJLi1ELi0ELi2EEEESE_Li2ELi2ELi2ELb0ELb1ESD_SE_SE_Li2ELi2ELi2ELb0ELb1ENSC_IJLi0ELi2ELi4ELi5ELi6ELi1ELi3ELi7EEEELi7ELi1ELi1ELNS_13LoopSchedulerE0ELNS_15PipelineVersionE0EEELb1EEEvNT_8ArgumentE, .Lfunc_end1-_ZN2ck23kernel_gemm_xdlops_v2r3INS_43GridwiseGemm_k0mk1_k0nk1_mn_xdlops_v2r3_extILi256EdddLNS_25InMemoryDataOperationEnumE0ENS_13tensor_layout4gemm8RowMajorENS4_11ColumnMajorES5_NS_16tensor_operation12element_wise11PassThroughES9_S9_LNS7_6device18GemmSpecializationE0ELi128ELi128ELi4ELi16ELi16ELi2ELi4ELi4ENS_8SequenceIJLi4ELi64ELi1EEEENSC_IJLi1ELi0ELi2EEEESE_Li2ELi2ELi2ELb0ELb1ESD_SE_SE_Li2ELi2ELi2ELb0ELb1ENSC_IJLi0ELi2ELi4ELi5ELi6ELi1ELi3ELi7EEEELi7ELi1ELi1ELNS_13LoopSchedulerE0ELNS_15PipelineVersionE0EEELb1EEEvNT_8ArgumentE
                                        ; -- End function
	.set _ZN2ck23kernel_gemm_xdlops_v2r3INS_43GridwiseGemm_k0mk1_k0nk1_mn_xdlops_v2r3_extILi256EdddLNS_25InMemoryDataOperationEnumE0ENS_13tensor_layout4gemm8RowMajorENS4_11ColumnMajorES5_NS_16tensor_operation12element_wise11PassThroughES9_S9_LNS7_6device18GemmSpecializationE0ELi128ELi128ELi4ELi16ELi16ELi2ELi4ELi4ENS_8SequenceIJLi4ELi64ELi1EEEENSC_IJLi1ELi0ELi2EEEESE_Li2ELi2ELi2ELb0ELb1ESD_SE_SE_Li2ELi2ELi2ELb0ELb1ENSC_IJLi0ELi2ELi4ELi5ELi6ELi1ELi3ELi7EEEELi7ELi1ELi1ELNS_13LoopSchedulerE0ELNS_15PipelineVersionE0EEELb1EEEvNT_8ArgumentE.num_vgpr, 168
	.set _ZN2ck23kernel_gemm_xdlops_v2r3INS_43GridwiseGemm_k0mk1_k0nk1_mn_xdlops_v2r3_extILi256EdddLNS_25InMemoryDataOperationEnumE0ENS_13tensor_layout4gemm8RowMajorENS4_11ColumnMajorES5_NS_16tensor_operation12element_wise11PassThroughES9_S9_LNS7_6device18GemmSpecializationE0ELi128ELi128ELi4ELi16ELi16ELi2ELi4ELi4ENS_8SequenceIJLi4ELi64ELi1EEEENSC_IJLi1ELi0ELi2EEEESE_Li2ELi2ELi2ELb0ELb1ESD_SE_SE_Li2ELi2ELi2ELb0ELb1ENSC_IJLi0ELi2ELi4ELi5ELi6ELi1ELi3ELi7EEEELi7ELi1ELi1ELNS_13LoopSchedulerE0ELNS_15PipelineVersionE0EEELb1EEEvNT_8ArgumentE.num_agpr, 0
	.set _ZN2ck23kernel_gemm_xdlops_v2r3INS_43GridwiseGemm_k0mk1_k0nk1_mn_xdlops_v2r3_extILi256EdddLNS_25InMemoryDataOperationEnumE0ENS_13tensor_layout4gemm8RowMajorENS4_11ColumnMajorES5_NS_16tensor_operation12element_wise11PassThroughES9_S9_LNS7_6device18GemmSpecializationE0ELi128ELi128ELi4ELi16ELi16ELi2ELi4ELi4ENS_8SequenceIJLi4ELi64ELi1EEEENSC_IJLi1ELi0ELi2EEEESE_Li2ELi2ELi2ELb0ELb1ESD_SE_SE_Li2ELi2ELi2ELb0ELb1ENSC_IJLi0ELi2ELi4ELi5ELi6ELi1ELi3ELi7EEEELi7ELi1ELi1ELNS_13LoopSchedulerE0ELNS_15PipelineVersionE0EEELb1EEEvNT_8ArgumentE.numbered_sgpr, 26
	.set _ZN2ck23kernel_gemm_xdlops_v2r3INS_43GridwiseGemm_k0mk1_k0nk1_mn_xdlops_v2r3_extILi256EdddLNS_25InMemoryDataOperationEnumE0ENS_13tensor_layout4gemm8RowMajorENS4_11ColumnMajorES5_NS_16tensor_operation12element_wise11PassThroughES9_S9_LNS7_6device18GemmSpecializationE0ELi128ELi128ELi4ELi16ELi16ELi2ELi4ELi4ENS_8SequenceIJLi4ELi64ELi1EEEENSC_IJLi1ELi0ELi2EEEESE_Li2ELi2ELi2ELb0ELb1ESD_SE_SE_Li2ELi2ELi2ELb0ELb1ENSC_IJLi0ELi2ELi4ELi5ELi6ELi1ELi3ELi7EEEELi7ELi1ELi1ELNS_13LoopSchedulerE0ELNS_15PipelineVersionE0EEELb1EEEvNT_8ArgumentE.num_named_barrier, 0
	.set _ZN2ck23kernel_gemm_xdlops_v2r3INS_43GridwiseGemm_k0mk1_k0nk1_mn_xdlops_v2r3_extILi256EdddLNS_25InMemoryDataOperationEnumE0ENS_13tensor_layout4gemm8RowMajorENS4_11ColumnMajorES5_NS_16tensor_operation12element_wise11PassThroughES9_S9_LNS7_6device18GemmSpecializationE0ELi128ELi128ELi4ELi16ELi16ELi2ELi4ELi4ENS_8SequenceIJLi4ELi64ELi1EEEENSC_IJLi1ELi0ELi2EEEESE_Li2ELi2ELi2ELb0ELb1ESD_SE_SE_Li2ELi2ELi2ELb0ELb1ENSC_IJLi0ELi2ELi4ELi5ELi6ELi1ELi3ELi7EEEELi7ELi1ELi1ELNS_13LoopSchedulerE0ELNS_15PipelineVersionE0EEELb1EEEvNT_8ArgumentE.private_seg_size, 0
	.set _ZN2ck23kernel_gemm_xdlops_v2r3INS_43GridwiseGemm_k0mk1_k0nk1_mn_xdlops_v2r3_extILi256EdddLNS_25InMemoryDataOperationEnumE0ENS_13tensor_layout4gemm8RowMajorENS4_11ColumnMajorES5_NS_16tensor_operation12element_wise11PassThroughES9_S9_LNS7_6device18GemmSpecializationE0ELi128ELi128ELi4ELi16ELi16ELi2ELi4ELi4ENS_8SequenceIJLi4ELi64ELi1EEEENSC_IJLi1ELi0ELi2EEEESE_Li2ELi2ELi2ELb0ELb1ESD_SE_SE_Li2ELi2ELi2ELb0ELb1ENSC_IJLi0ELi2ELi4ELi5ELi6ELi1ELi3ELi7EEEELi7ELi1ELi1ELNS_13LoopSchedulerE0ELNS_15PipelineVersionE0EEELb1EEEvNT_8ArgumentE.uses_vcc, 0
	.set _ZN2ck23kernel_gemm_xdlops_v2r3INS_43GridwiseGemm_k0mk1_k0nk1_mn_xdlops_v2r3_extILi256EdddLNS_25InMemoryDataOperationEnumE0ENS_13tensor_layout4gemm8RowMajorENS4_11ColumnMajorES5_NS_16tensor_operation12element_wise11PassThroughES9_S9_LNS7_6device18GemmSpecializationE0ELi128ELi128ELi4ELi16ELi16ELi2ELi4ELi4ENS_8SequenceIJLi4ELi64ELi1EEEENSC_IJLi1ELi0ELi2EEEESE_Li2ELi2ELi2ELb0ELb1ESD_SE_SE_Li2ELi2ELi2ELb0ELb1ENSC_IJLi0ELi2ELi4ELi5ELi6ELi1ELi3ELi7EEEELi7ELi1ELi1ELNS_13LoopSchedulerE0ELNS_15PipelineVersionE0EEELb1EEEvNT_8ArgumentE.uses_flat_scratch, 0
	.set _ZN2ck23kernel_gemm_xdlops_v2r3INS_43GridwiseGemm_k0mk1_k0nk1_mn_xdlops_v2r3_extILi256EdddLNS_25InMemoryDataOperationEnumE0ENS_13tensor_layout4gemm8RowMajorENS4_11ColumnMajorES5_NS_16tensor_operation12element_wise11PassThroughES9_S9_LNS7_6device18GemmSpecializationE0ELi128ELi128ELi4ELi16ELi16ELi2ELi4ELi4ENS_8SequenceIJLi4ELi64ELi1EEEENSC_IJLi1ELi0ELi2EEEESE_Li2ELi2ELi2ELb0ELb1ESD_SE_SE_Li2ELi2ELi2ELb0ELb1ENSC_IJLi0ELi2ELi4ELi5ELi6ELi1ELi3ELi7EEEELi7ELi1ELi1ELNS_13LoopSchedulerE0ELNS_15PipelineVersionE0EEELb1EEEvNT_8ArgumentE.has_dyn_sized_stack, 0
	.set _ZN2ck23kernel_gemm_xdlops_v2r3INS_43GridwiseGemm_k0mk1_k0nk1_mn_xdlops_v2r3_extILi256EdddLNS_25InMemoryDataOperationEnumE0ENS_13tensor_layout4gemm8RowMajorENS4_11ColumnMajorES5_NS_16tensor_operation12element_wise11PassThroughES9_S9_LNS7_6device18GemmSpecializationE0ELi128ELi128ELi4ELi16ELi16ELi2ELi4ELi4ENS_8SequenceIJLi4ELi64ELi1EEEENSC_IJLi1ELi0ELi2EEEESE_Li2ELi2ELi2ELb0ELb1ESD_SE_SE_Li2ELi2ELi2ELb0ELb1ENSC_IJLi0ELi2ELi4ELi5ELi6ELi1ELi3ELi7EEEELi7ELi1ELi1ELNS_13LoopSchedulerE0ELNS_15PipelineVersionE0EEELb1EEEvNT_8ArgumentE.has_recursion, 0
	.set _ZN2ck23kernel_gemm_xdlops_v2r3INS_43GridwiseGemm_k0mk1_k0nk1_mn_xdlops_v2r3_extILi256EdddLNS_25InMemoryDataOperationEnumE0ENS_13tensor_layout4gemm8RowMajorENS4_11ColumnMajorES5_NS_16tensor_operation12element_wise11PassThroughES9_S9_LNS7_6device18GemmSpecializationE0ELi128ELi128ELi4ELi16ELi16ELi2ELi4ELi4ENS_8SequenceIJLi4ELi64ELi1EEEENSC_IJLi1ELi0ELi2EEEESE_Li2ELi2ELi2ELb0ELb1ESD_SE_SE_Li2ELi2ELi2ELb0ELb1ENSC_IJLi0ELi2ELi4ELi5ELi6ELi1ELi3ELi7EEEELi7ELi1ELi1ELNS_13LoopSchedulerE0ELNS_15PipelineVersionE0EEELb1EEEvNT_8ArgumentE.has_indirect_call, 0
	.section	.AMDGPU.csdata,"",@progbits
; Kernel info:
; codeLenInByte = 3196
; TotalNumSgprs: 32
; NumVgprs: 168
; NumAgprs: 0
; TotalNumVgprs: 168
; ScratchSize: 0
; MemoryBound: 0
; FloatMode: 240
; IeeeMode: 1
; LDSByteSize: 16480 bytes/workgroup (compile time only)
; SGPRBlocks: 3
; VGPRBlocks: 20
; NumSGPRsForWavesPerEU: 32
; NumVGPRsForWavesPerEU: 168
; AccumOffset: 168
; Occupancy: 3
; WaveLimiterHint : 0
; COMPUTE_PGM_RSRC2:SCRATCH_EN: 0
; COMPUTE_PGM_RSRC2:USER_SGPR: 2
; COMPUTE_PGM_RSRC2:TRAP_HANDLER: 0
; COMPUTE_PGM_RSRC2:TGID_X_EN: 1
; COMPUTE_PGM_RSRC2:TGID_Y_EN: 0
; COMPUTE_PGM_RSRC2:TGID_Z_EN: 0
; COMPUTE_PGM_RSRC2:TIDIG_COMP_CNT: 0
; COMPUTE_PGM_RSRC3_GFX90A:ACCUM_OFFSET: 41
; COMPUTE_PGM_RSRC3_GFX90A:TG_SPLIT: 0
	.section	.text._ZN2ck23kernel_gemm_xdlops_v2r3INS_43GridwiseGemm_k0mk1_k0nk1_mn_xdlops_v2r3_extILi256EdddLNS_25InMemoryDataOperationEnumE0ENS_13tensor_layout4gemm8RowMajorENS4_11ColumnMajorES5_NS_16tensor_operation12element_wise11PassThroughES9_S9_LNS7_6device18GemmSpecializationE0ELi128ELi128ELi4ELi16ELi16ELi2ELi4ELi4ENS_8SequenceIJLi4ELi64ELi1EEEENSC_IJLi1ELi0ELi2EEEESE_Li2ELi2ELi2ELb0ELb1ESD_SE_SE_Li2ELi2ELi2ELb0ELb1ENSC_IJLi0ELi2ELi4ELi5ELi6ELi1ELi3ELi7EEEELi7ELi1ELi1ELNS_13LoopSchedulerE0ELNS_15PipelineVersionE0EEELb0EEEvNT_8ArgumentE,"axG",@progbits,_ZN2ck23kernel_gemm_xdlops_v2r3INS_43GridwiseGemm_k0mk1_k0nk1_mn_xdlops_v2r3_extILi256EdddLNS_25InMemoryDataOperationEnumE0ENS_13tensor_layout4gemm8RowMajorENS4_11ColumnMajorES5_NS_16tensor_operation12element_wise11PassThroughES9_S9_LNS7_6device18GemmSpecializationE0ELi128ELi128ELi4ELi16ELi16ELi2ELi4ELi4ENS_8SequenceIJLi4ELi64ELi1EEEENSC_IJLi1ELi0ELi2EEEESE_Li2ELi2ELi2ELb0ELb1ESD_SE_SE_Li2ELi2ELi2ELb0ELb1ENSC_IJLi0ELi2ELi4ELi5ELi6ELi1ELi3ELi7EEEELi7ELi1ELi1ELNS_13LoopSchedulerE0ELNS_15PipelineVersionE0EEELb0EEEvNT_8ArgumentE,comdat
	.protected	_ZN2ck23kernel_gemm_xdlops_v2r3INS_43GridwiseGemm_k0mk1_k0nk1_mn_xdlops_v2r3_extILi256EdddLNS_25InMemoryDataOperationEnumE0ENS_13tensor_layout4gemm8RowMajorENS4_11ColumnMajorES5_NS_16tensor_operation12element_wise11PassThroughES9_S9_LNS7_6device18GemmSpecializationE0ELi128ELi128ELi4ELi16ELi16ELi2ELi4ELi4ENS_8SequenceIJLi4ELi64ELi1EEEENSC_IJLi1ELi0ELi2EEEESE_Li2ELi2ELi2ELb0ELb1ESD_SE_SE_Li2ELi2ELi2ELb0ELb1ENSC_IJLi0ELi2ELi4ELi5ELi6ELi1ELi3ELi7EEEELi7ELi1ELi1ELNS_13LoopSchedulerE0ELNS_15PipelineVersionE0EEELb0EEEvNT_8ArgumentE ; -- Begin function _ZN2ck23kernel_gemm_xdlops_v2r3INS_43GridwiseGemm_k0mk1_k0nk1_mn_xdlops_v2r3_extILi256EdddLNS_25InMemoryDataOperationEnumE0ENS_13tensor_layout4gemm8RowMajorENS4_11ColumnMajorES5_NS_16tensor_operation12element_wise11PassThroughES9_S9_LNS7_6device18GemmSpecializationE0ELi128ELi128ELi4ELi16ELi16ELi2ELi4ELi4ENS_8SequenceIJLi4ELi64ELi1EEEENSC_IJLi1ELi0ELi2EEEESE_Li2ELi2ELi2ELb0ELb1ESD_SE_SE_Li2ELi2ELi2ELb0ELb1ENSC_IJLi0ELi2ELi4ELi5ELi6ELi1ELi3ELi7EEEELi7ELi1ELi1ELNS_13LoopSchedulerE0ELNS_15PipelineVersionE0EEELb0EEEvNT_8ArgumentE
	.globl	_ZN2ck23kernel_gemm_xdlops_v2r3INS_43GridwiseGemm_k0mk1_k0nk1_mn_xdlops_v2r3_extILi256EdddLNS_25InMemoryDataOperationEnumE0ENS_13tensor_layout4gemm8RowMajorENS4_11ColumnMajorES5_NS_16tensor_operation12element_wise11PassThroughES9_S9_LNS7_6device18GemmSpecializationE0ELi128ELi128ELi4ELi16ELi16ELi2ELi4ELi4ENS_8SequenceIJLi4ELi64ELi1EEEENSC_IJLi1ELi0ELi2EEEESE_Li2ELi2ELi2ELb0ELb1ESD_SE_SE_Li2ELi2ELi2ELb0ELb1ENSC_IJLi0ELi2ELi4ELi5ELi6ELi1ELi3ELi7EEEELi7ELi1ELi1ELNS_13LoopSchedulerE0ELNS_15PipelineVersionE0EEELb0EEEvNT_8ArgumentE
	.p2align	8
	.type	_ZN2ck23kernel_gemm_xdlops_v2r3INS_43GridwiseGemm_k0mk1_k0nk1_mn_xdlops_v2r3_extILi256EdddLNS_25InMemoryDataOperationEnumE0ENS_13tensor_layout4gemm8RowMajorENS4_11ColumnMajorES5_NS_16tensor_operation12element_wise11PassThroughES9_S9_LNS7_6device18GemmSpecializationE0ELi128ELi128ELi4ELi16ELi16ELi2ELi4ELi4ENS_8SequenceIJLi4ELi64ELi1EEEENSC_IJLi1ELi0ELi2EEEESE_Li2ELi2ELi2ELb0ELb1ESD_SE_SE_Li2ELi2ELi2ELb0ELb1ENSC_IJLi0ELi2ELi4ELi5ELi6ELi1ELi3ELi7EEEELi7ELi1ELi1ELNS_13LoopSchedulerE0ELNS_15PipelineVersionE0EEELb0EEEvNT_8ArgumentE,@function
_ZN2ck23kernel_gemm_xdlops_v2r3INS_43GridwiseGemm_k0mk1_k0nk1_mn_xdlops_v2r3_extILi256EdddLNS_25InMemoryDataOperationEnumE0ENS_13tensor_layout4gemm8RowMajorENS4_11ColumnMajorES5_NS_16tensor_operation12element_wise11PassThroughES9_S9_LNS7_6device18GemmSpecializationE0ELi128ELi128ELi4ELi16ELi16ELi2ELi4ELi4ENS_8SequenceIJLi4ELi64ELi1EEEENSC_IJLi1ELi0ELi2EEEESE_Li2ELi2ELi2ELb0ELb1ESD_SE_SE_Li2ELi2ELi2ELb0ELb1ENSC_IJLi0ELi2ELi4ELi5ELi6ELi1ELi3ELi7EEEELi7ELi1ELi1ELNS_13LoopSchedulerE0ELNS_15PipelineVersionE0EEELb0EEEvNT_8ArgumentE: ; @_ZN2ck23kernel_gemm_xdlops_v2r3INS_43GridwiseGemm_k0mk1_k0nk1_mn_xdlops_v2r3_extILi256EdddLNS_25InMemoryDataOperationEnumE0ENS_13tensor_layout4gemm8RowMajorENS4_11ColumnMajorES5_NS_16tensor_operation12element_wise11PassThroughES9_S9_LNS7_6device18GemmSpecializationE0ELi128ELi128ELi4ELi16ELi16ELi2ELi4ELi4ENS_8SequenceIJLi4ELi64ELi1EEEENSC_IJLi1ELi0ELi2EEEESE_Li2ELi2ELi2ELb0ELb1ESD_SE_SE_Li2ELi2ELi2ELb0ELb1ENSC_IJLi0ELi2ELi4ELi5ELi6ELi1ELi3ELi7EEEELi7ELi1ELi1ELNS_13LoopSchedulerE0ELNS_15PipelineVersionE0EEELb0EEEvNT_8ArgumentE
; %bb.0:
	s_load_dwordx4 s[4:7], s[0:1], 0x10
	v_lshrrev_b32_e32 v2, 1, v0
	v_and_b32_e32 v18, 0x7e, v2
	v_lshrrev_b32_e32 v52, 7, v0
	v_bfe_u32 v54, v0, 4, 2
	s_waitcnt lgkmcnt(0)
	s_add_i32 s3, s4, 0x7f
	s_add_i32 s8, s5, 0x7f
	s_ashr_i32 s9, s3, 31
	s_ashr_i32 s10, s8, 31
	s_lshr_b32 s9, s9, 25
	s_add_i32 s3, s3, s9
	s_lshr_b32 s9, s10, 25
	s_add_i32 s8, s8, s9
	s_ashr_i32 s3, s3, 7
	s_ashr_i32 s11, s8, 7
	s_mul_i32 s8, s11, s3
	s_abs_i32 s12, s8
	v_cvt_f32_u32_e32 v1, s12
	s_load_dwordx2 s[8:9], s[0:1], 0x20
	s_add_i32 s4, s4, -1
	s_add_i32 s10, s5, -1
	v_rcp_iflag_f32_e32 v1, v1
	s_mul_i32 s14, s4, s7
	s_waitcnt lgkmcnt(0)
	s_mul_i32 s10, s10, s8
	s_mul_i32 s4, s4, s9
	v_mul_f32_e32 v1, 0x4f7ffffe, v1
	v_cvt_u32_f32_e32 v1, v1
	s_add_u32 s17, s10, s6
	s_add_u32 s10, s4, s5
	s_sub_i32 s5, 0, s12
	v_readfirstlane_b32 s13, v1
	s_mul_i32 s5, s5, s13
	s_mul_hi_u32 s5, s13, s5
	s_ashr_i32 s4, s2, 31
	s_abs_i32 s2, s2
	s_add_i32 s13, s13, s5
	s_mul_hi_u32 s5, s2, s13
	s_mul_i32 s5, s5, s12
	s_sub_i32 s2, s2, s5
	s_add_u32 s16, s14, s6
	s_sub_i32 s5, s2, s12
	s_cmp_ge_u32 s2, s12
	s_cselect_b32 s2, s5, s2
	s_sub_i32 s5, s2, s12
	s_cmp_ge_u32 s2, s12
	s_cselect_b32 s2, s5, s2
	s_abs_i32 s5, s11
	v_cvt_f32_u32_e32 v1, s5
	s_sub_i32 s13, 0, s5
	s_xor_b32 s2, s2, s4
	s_sub_i32 s2, s2, s4
	v_rcp_iflag_f32_e32 v1, v1
	s_abs_i32 s12, s2
	s_xor_b32 s4, s2, s11
	s_ashr_i32 s4, s4, 31
	v_mul_f32_e32 v1, 0x4f7ffffe, v1
	v_cvt_u32_f32_e32 v1, v1
	v_and_b32_e32 v53, 15, v0
	v_lshlrev_b32_e32 v55, 4, v52
	v_or_b32_e32 v22, v55, v53
	v_readfirstlane_b32 s6, v1
	s_mul_i32 s13, s13, s6
	s_mul_hi_u32 s13, s6, s13
	s_add_i32 s6, s6, s13
	s_mul_hi_u32 s6, s12, s6
	s_mul_i32 s13, s6, s5
	s_sub_i32 s12, s12, s13
	s_add_i32 s13, s6, 1
	s_sub_i32 s14, s12, s5
	s_cmp_ge_u32 s12, s5
	s_cselect_b32 s6, s13, s6
	s_cselect_b32 s12, s14, s12
	s_add_i32 s13, s6, 1
	s_cmp_ge_u32 s12, s5
	s_cselect_b32 s5, s13, s6
	s_xor_b32 s5, s5, s4
	s_sub_i32 s4, s5, s4
	s_lshr_b32 s5, s3, 29
	s_add_i32 s5, s3, s5
	s_and_b32 s5, s5, -8
	s_sub_i32 s3, s3, s5
	s_cmp_ge_i32 s4, s5
	s_cselect_b32 s3, s3, 8
	s_abs_i32 s5, s3
	v_cvt_f32_u32_e32 v1, s5
	s_mul_i32 s12, s4, s11
	s_sub_i32 s2, s2, s12
	s_ashr_i32 s12, s4, 31
	v_rcp_iflag_f32_e32 v1, v1
	s_lshr_b32 s12, s12, 29
	s_add_i32 s12, s4, s12
	s_and_b32 s12, s12, -8
	v_mul_f32_e32 v1, 0x4f7ffffe, v1
	v_cvt_u32_f32_e32 v1, v1
	s_sub_i32 s4, s4, s12
	s_sub_i32 s13, 0, s5
	s_mul_i32 s4, s4, s11
	v_readfirstlane_b32 s6, v1
	s_mul_i32 s13, s13, s6
	s_add_i32 s4, s4, s2
	s_mul_hi_u32 s13, s6, s13
	s_abs_i32 s11, s4
	s_add_i32 s6, s6, s13
	s_mul_hi_u32 s6, s11, s6
	s_mul_i32 s13, s6, s5
	s_xor_b32 s2, s4, s3
	s_sub_i32 s11, s11, s13
	s_ashr_i32 s2, s2, 31
	s_add_i32 s13, s6, 1
	s_sub_i32 s14, s11, s5
	s_cmp_ge_u32 s11, s5
	s_cselect_b32 s6, s13, s6
	s_cselect_b32 s11, s14, s11
	s_add_i32 s13, s6, 1
	s_cmp_ge_u32 s11, s5
	s_cselect_b32 s5, s13, s6
	s_xor_b32 s5, s5, s2
	s_sub_i32 s6, s5, s2
	s_mul_i32 s2, s6, s3
	s_sub_i32 s2, s4, s2
	s_add_i32 s12, s12, s2
	s_lshl_b32 s2, s12, 7
	s_load_dwordx4 s[12:15], s[0:1], 0x38
	v_and_b32_e32 v1, 3, v0
	v_or_b32_e32 v3, s2, v18
	v_lshlrev_b32_e32 v2, 1, v1
	s_lshl_b32 s3, s6, 7
	v_mad_u64_u32 v[4:5], s[4:5], v3, s7, v[2:3]
	v_or_b32_e32 v3, s3, v18
	v_mad_u64_u32 v[2:3], s[4:5], v3, s8, v[2:3]
	v_lshlrev_b32_e32 v10, 3, v4
	v_add_lshl_u32 v11, v4, s7, 3
	s_lshl_b32 s6, s16, 3
	s_waitcnt lgkmcnt(0)
	s_and_b32 s5, s13, 0xffff
	s_mov_b32 s7, 0x20000
	s_mov_b32 s4, s12
	v_lshlrev_b32_e32 v19, 3, v2
	v_add_lshl_u32 v20, v2, s8, 3
	buffer_load_dwordx4 v[2:5], v10, s[4:7], 0 offen
	buffer_load_dwordx4 v[6:9], v11, s[4:7], 0 offen
	s_lshl_b32 s6, s17, 3
	s_and_b32 s5, s15, 0xffff
	s_mov_b32 s4, s14
	buffer_load_dwordx4 v[10:13], v19, s[4:7], 0 offen
	buffer_load_dwordx4 v[14:17], v20, s[4:7], 0 offen
	v_mul_u32_u24_e32 v20, 0x102, v54
	v_mul_u32_u24_e32 v1, 0x102, v1
	v_lshlrev_b32_e32 v18, 1, v18
	v_lshlrev_b32_e32 v20, 3, v20
	v_add_lshl_u32 v1, v18, v1, 3
	v_lshl_add_u32 v56, v22, 4, v20
	v_lshlrev_b32_e32 v19, 2, v0
	v_lshlrev_b32_e32 v21, 4, v53
	s_movk_i32 s4, 0x100
	v_lshrrev_b32_e32 v0, 2, v0
	s_load_dwordx2 s[0:1], s[0:1], 0x48
	s_waitcnt vmcnt(3)
	ds_write_b128 v1, v[2:5]
	s_waitcnt vmcnt(2)
	ds_write_b128 v1, v[6:9] offset:16
	s_waitcnt vmcnt(1)
	ds_write_b128 v1, v[10:13] offset:8240
	s_waitcnt vmcnt(0)
	ds_write_b128 v1, v[14:17] offset:8256
	s_waitcnt lgkmcnt(0)
	s_barrier
	ds_read_b128 v[48:51], v56
	v_and_or_b32 v1, v19, s4, v21
	v_add_u32_e32 v1, v1, v20
	ds_read_b128 v[6:9], v1 offset:8240
	ds_read_b128 v[2:5], v1 offset:8752
	;; [unrolled: 1-line block ×4, first 2 shown]
	s_getpc_b64 s[4:5]
	s_add_u32 s4, s4, _ZN2ck51BlockwiseGemmXdlops_k0mk1_k0nk1_m0n0m1n1m2m3m4n2_v1ILi256EdddKNS_16TensorDescriptorINS_5TupleIJNS_5EmbedINS2_IJNS_17integral_constantIiLi4EEENS4_IiLi128EEENS4_IiLi2EEEEEENS2_IJNS4_IiLi258EEES7_NS4_IiLi1EEEEEELb0EEEEEENS2_IJNS_8SequenceIJLi0EEEEEEENS2_IJNSE_IJLi1ELi2ELi3EEEEEEESH_NS4_IlLl1030EEEEESL_Li16ELi16ELi4ELi4ELi2EddE6NWavesE@rel32@lo+4
	s_addc_u32 s5, s5, _ZN2ck51BlockwiseGemmXdlops_k0mk1_k0nk1_m0n0m1n1m2m3m4n2_v1ILi256EdddKNS_16TensorDescriptorINS_5TupleIJNS_5EmbedINS2_IJNS_17integral_constantIiLi4EEENS4_IiLi128EEENS4_IiLi2EEEEEENS2_IJNS4_IiLi258EEES7_NS4_IiLi1EEEEEELb0EEEEEENS2_IJNS_8SequenceIJLi0EEEEEEENS2_IJNSE_IJLi1ELi2ELi3EEEEEEESH_NS4_IlLl1030EEEEESL_Li16ELi16ELi4ELi4ELi2EddE6NWavesE@rel32@hi+12
	s_load_dword s6, s[4:5], 0x0
	s_getpc_b64 s[4:5]
	s_add_u32 s4, s4, _ZN2ck51BlockwiseGemmXdlops_k0mk1_k0nk1_m0n0m1n1m2m3m4n2_v1ILi256EdddKNS_16TensorDescriptorINS_5TupleIJNS_5EmbedINS2_IJNS_17integral_constantIiLi4EEENS4_IiLi128EEENS4_IiLi2EEEEEENS2_IJNS4_IiLi258EEES7_NS4_IiLi1EEEEEELb0EEEEEENS2_IJNS_8SequenceIJLi0EEEEEEENS2_IJNSE_IJLi1ELi2ELi3EEEEEEESH_NS4_IlLl1030EEEEESL_Li16ELi16ELi4ELi4ELi2EddE6MWavesE@rel32@lo+4
	s_addc_u32 s5, s5, _ZN2ck51BlockwiseGemmXdlops_k0mk1_k0nk1_m0n0m1n1m2m3m4n2_v1ILi256EdddKNS_16TensorDescriptorINS_5TupleIJNS_5EmbedINS2_IJNS_17integral_constantIiLi4EEENS4_IiLi128EEENS4_IiLi2EEEEEENS2_IJNS4_IiLi258EEES7_NS4_IiLi1EEEEEELb0EEEEEENS2_IJNS_8SequenceIJLi0EEEEEEENS2_IJNSE_IJLi1ELi2ELi3EEEEEEESH_NS4_IlLl1030EEEEESL_Li16ELi16ELi4ELi4ELi2EddE6MWavesE@rel32@hi+12
	s_load_dword s5, s[4:5], 0x0
	s_waitcnt lgkmcnt(0)
	v_mfma_f64_16x16x4_f64 v[18:25], v[48:49], v[6:7], 0
	v_mfma_f64_16x16x4_f64 v[26:33], v[48:49], v[2:3], 0
	;; [unrolled: 1-line block ×4, first 2 shown]
	v_lshlrev_b32_e32 v1, 5, v52
	s_lshl_b32 s4, s6, 4
	s_lshl_b32 s6, s5, 4
	s_lshr_b32 s2, s2, 5
	s_mul_i32 s2, s2, s6
	s_and_b32 s1, s1, 0xffff
	s_lshl_b32 s5, s9, 2
	s_mul_i32 s6, s6, s9
	v_mfma_f64_16x16x4_f64 v[18:25], v[50:51], v[8:9], v[18:25]
	v_mfma_f64_16x16x4_f64 v[26:33], v[50:51], v[4:5], v[26:33]
	;; [unrolled: 1-line block ×4, first 2 shown]
	v_and_or_b32 v50, v0, 16, v53
	v_sub_u32_e32 v0, v0, v1
	v_add_u32_e32 v0, s3, v0
	v_lshrrev_b32_e32 v0, 5, v0
	v_or3_b32 v1, v55, v54, s2
	v_mul_lo_u32 v0, v0, s4
	v_mul_lo_u32 v1, v1, s9
	v_add3_u32 v0, v50, v0, v1
	v_lshlrev_b32_e32 v1, 3, v0
	v_add_u32_e32 v50, s4, v0
	s_mov_b32 s3, s7
	s_lshl_b32 s2, s10, 3
	s_nop 2
	buffer_store_dwordx2 v[18:19], v1, s[0:3], 0 offen
	v_add_u32_e32 v1, s4, v50
	v_lshlrev_b32_e32 v51, 3, v50
	v_lshlrev_b32_e32 v18, 3, v1
	buffer_store_dwordx2 v[26:27], v51, s[0:3], 0 offen
	buffer_store_dwordx2 v[34:35], v18, s[0:3], 0 offen
	v_add_u32_e32 v18, s4, v1
	v_lshlrev_b32_e32 v19, 3, v18
	v_add_u32_e32 v18, s5, v18
	buffer_store_dwordx2 v[42:43], v19, s[0:3], 0 offen
	v_lshlrev_b32_e32 v19, 3, v18
	v_add_u32_e32 v1, s5, v1
	buffer_store_dwordx2 v[44:45], v19, s[0:3], 0 offen
	v_lshlrev_b32_e32 v19, 3, v1
	buffer_store_dwordx2 v[36:37], v19, s[0:3], 0 offen
	v_add_u32_e32 v19, s5, v50
	v_lshlrev_b32_e32 v26, 3, v19
	v_add_u32_e32 v0, s5, v0
	buffer_store_dwordx2 v[28:29], v26, s[0:3], 0 offen
	v_lshlrev_b32_e32 v26, 3, v0
	v_add_lshl_u32 v0, v0, s5, 3
	v_add_u32_e32 v52, s5, v18
	buffer_store_dwordx2 v[20:21], v26, s[0:3], 0 offen
	v_add_lshl_u32 v19, v19, s5, 3
	v_add_lshl_u32 v1, v1, s5, 3
	buffer_store_dwordx2 v[22:23], v0, s[0:3], 0 offen
	v_lshlrev_b32_e32 v0, 3, v52
	v_add_u32_e32 v53, s5, v52
	buffer_store_dwordx2 v[30:31], v19, s[0:3], 0 offen
	buffer_store_dwordx2 v[38:39], v1, s[0:3], 0 offen
	v_lshlrev_b32_e32 v1, 3, v53
	buffer_store_dwordx2 v[46:47], v0, s[0:3], 0 offen
	buffer_store_dwordx2 v[48:49], v1, s[0:3], 0 offen
	ds_read_b128 v[48:51], v56 offset:512
	v_subrev_u32_e32 v0, s4, v53
	v_lshlrev_b32_e32 v1, 3, v0
	buffer_store_dwordx2 v[40:41], v1, s[0:3], 0 offen
	v_subrev_u32_e32 v1, s4, v0
	v_lshlrev_b32_e32 v18, 3, v1
	v_subrev_u32_e32 v54, s4, v1
	buffer_store_dwordx2 v[32:33], v18, s[0:3], 0 offen
	v_lshlrev_b32_e32 v18, 3, v54
	s_waitcnt lgkmcnt(0)
	v_mfma_f64_16x16x4_f64 v[34:41], v[48:49], v[6:7], 0
	v_mfma_f64_16x16x4_f64 v[26:33], v[48:49], v[2:3], 0
	buffer_store_dwordx2 v[24:25], v18, s[0:3], 0 offen
	v_mfma_f64_16x16x4_f64 v[18:25], v[48:49], v[10:11], 0
	v_mfma_f64_16x16x4_f64 v[42:49], v[48:49], v[14:15], 0
	v_add_lshl_u32 v1, v1, s6, 3
	v_add_lshl_u32 v0, v0, s6, 3
	v_mfma_f64_16x16x4_f64 v[34:41], v[50:51], v[8:9], v[34:41]
	v_mfma_f64_16x16x4_f64 v[26:33], v[50:51], v[4:5], v[26:33]
	;; [unrolled: 1-line block ×4, first 2 shown]
	v_add_lshl_u32 v50, v54, s6, 3
	s_nop 13
	buffer_store_dwordx2 v[40:41], v50, s[0:3], 0 offen
	buffer_store_dwordx2 v[32:33], v1, s[0:3], 0 offen
	;; [unrolled: 1-line block ×3, first 2 shown]
	v_add_u32_e32 v0, s6, v53
	v_lshlrev_b32_e32 v1, 3, v0
	buffer_store_dwordx2 v[48:49], v1, s[0:3], 0 offen
	v_add_u32_e32 v1, s6, v52
	v_lshlrev_b32_e32 v24, 3, v1
	buffer_store_dwordx2 v[46:47], v24, s[0:3], 0 offen
	v_subrev_u32_e32 v24, s4, v1
	v_lshlrev_b32_e32 v25, 3, v24
	buffer_store_dwordx2 v[22:23], v25, s[0:3], 0 offen
	v_subrev_u32_e32 v22, s4, v24
	v_lshlrev_b32_e32 v23, 3, v22
	v_subrev_u32_e32 v22, s4, v22
	ds_read_b128 v[48:51], v56 offset:1024
	v_subrev_u32_e32 v52, s5, v22
	buffer_store_dwordx2 v[30:31], v23, s[0:3], 0 offen
	v_lshlrev_b32_e32 v23, 3, v22
	v_lshlrev_b32_e32 v22, 3, v52
	v_add_u32_e32 v53, s4, v52
	buffer_store_dwordx2 v[38:39], v23, s[0:3], 0 offen
	buffer_store_dwordx2 v[36:37], v22, s[0:3], 0 offen
	v_lshlrev_b32_e32 v22, 3, v53
	v_add_u32_e32 v54, s4, v53
	buffer_store_dwordx2 v[28:29], v22, s[0:3], 0 offen
	v_lshlrev_b32_e32 v22, 3, v54
	v_add_u32_e32 v55, s4, v54
	buffer_store_dwordx2 v[20:21], v22, s[0:3], 0 offen
	v_lshlrev_b32_e32 v20, 3, v55
	v_subrev_u32_e32 v57, s5, v55
	buffer_store_dwordx2 v[44:45], v20, s[0:3], 0 offen
	v_lshlrev_b32_e32 v20, 3, v57
	v_subrev_u32_e32 v58, s4, v57
	buffer_store_dwordx2 v[42:43], v20, s[0:3], 0 offen
	v_lshlrev_b32_e32 v20, 3, v58
	v_subrev_u32_e32 v59, s4, v58
	buffer_store_dwordx2 v[18:19], v20, s[0:3], 0 offen
	v_lshlrev_b32_e32 v18, 3, v59
	v_subrev_u32_e32 v60, s4, v59
	buffer_store_dwordx2 v[26:27], v18, s[0:3], 0 offen
	s_waitcnt lgkmcnt(0)
	v_mfma_f64_16x16x4_f64 v[18:25], v[48:49], v[6:7], 0
	v_lshlrev_b32_e32 v26, 3, v60
	buffer_store_dwordx2 v[34:35], v26, s[0:3], 0 offen
	v_mfma_f64_16x16x4_f64 v[26:33], v[48:49], v[2:3], 0
	v_add_lshl_u32 v1, v1, s6, 3
	v_mfma_f64_16x16x4_f64 v[34:41], v[48:49], v[10:11], 0
	v_mfma_f64_16x16x4_f64 v[42:49], v[48:49], v[14:15], 0
	;; [unrolled: 1-line block ×6, first 2 shown]
	v_add_lshl_u32 v50, v60, s6, 3
	s_nop 13
	buffer_store_dwordx2 v[18:19], v50, s[0:3], 0 offen
	v_add_lshl_u32 v18, v59, s6, 3
	buffer_store_dwordx2 v[26:27], v18, s[0:3], 0 offen
	v_add_lshl_u32 v18, v58, s6, 3
	;; [unrolled: 2-line block ×4, first 2 shown]
	buffer_store_dwordx2 v[44:45], v18, s[0:3], 0 offen
	v_add_u32_e32 v18, s6, v54
	v_lshlrev_b32_e32 v19, 3, v18
	buffer_store_dwordx2 v[36:37], v19, s[0:3], 0 offen
	v_add_u32_e32 v19, s6, v53
	v_lshlrev_b32_e32 v26, 3, v19
	;; [unrolled: 3-line block ×3, first 2 shown]
	buffer_store_dwordx2 v[20:21], v27, s[0:3], 0 offen
	v_add_lshl_u32 v20, v26, s5, 3
	buffer_store_dwordx2 v[22:23], v20, s[0:3], 0 offen
	v_add_lshl_u32 v19, v19, s5, 3
	;; [unrolled: 2-line block ×3, first 2 shown]
	buffer_store_dwordx2 v[38:39], v18, s[0:3], 0 offen
	ds_read_b128 v[18:21], v56 offset:1536
	buffer_store_dwordx2 v[46:47], v1, s[0:3], 0 offen
	v_add_u32_e32 v22, s6, v0
	v_lshlrev_b32_e32 v0, 3, v22
	buffer_store_dwordx2 v[48:49], v0, s[0:3], 0 offen
	v_subrev_u32_e32 v23, s4, v22
	v_lshlrev_b32_e32 v0, 3, v23
	buffer_store_dwordx2 v[40:41], v0, s[0:3], 0 offen
	s_waitcnt lgkmcnt(0)
	v_mfma_f64_16x16x4_f64 v[34:41], v[18:19], v[2:3], 0
	v_mfma_f64_16x16x4_f64 v[42:49], v[18:19], v[6:7], 0
	;; [unrolled: 1-line block ×8, first 2 shown]
	v_subrev_u32_e32 v16, s4, v23
	v_lshlrev_b32_e32 v17, 3, v16
	buffer_store_dwordx2 v[32:33], v17, s[0:3], 0 offen
	v_subrev_u32_e32 v17, s4, v16
	v_lshlrev_b32_e32 v18, 3, v17
	buffer_store_dwordx2 v[24:25], v18, s[0:3], 0 offen
	v_add_lshl_u32 v17, v17, s6, 3
	s_nop 7
	buffer_store_dwordx2 v[48:49], v17, s[0:3], 0 offen
	v_add_lshl_u32 v16, v16, s6, 3
	buffer_store_dwordx2 v[40:41], v16, s[0:3], 0 offen
	v_add_lshl_u32 v16, v23, s6, 3
	buffer_store_dwordx2 v[6:7], v16, s[0:3], 0 offen
	v_add_u32_e32 v6, s6, v22
	v_lshlrev_b32_e32 v7, 3, v6
	v_subrev_u32_e32 v6, s5, v6
	buffer_store_dwordx2 v[14:15], v7, s[0:3], 0 offen
	v_lshlrev_b32_e32 v7, 3, v6
	buffer_store_dwordx2 v[12:13], v7, s[0:3], 0 offen
	v_subrev_u32_e32 v6, s4, v6
	v_lshlrev_b32_e32 v7, 3, v6
	buffer_store_dwordx2 v[4:5], v7, s[0:3], 0 offen
	v_subrev_u32_e32 v4, s4, v6
	;; [unrolled: 3-line block ×4, first 2 shown]
	v_lshlrev_b32_e32 v5, 3, v4
	buffer_store_dwordx2 v[44:45], v5, s[0:3], 0 offen
	v_add_u32_e32 v4, s4, v4
	v_lshlrev_b32_e32 v5, 3, v4
	buffer_store_dwordx2 v[36:37], v5, s[0:3], 0 offen
	v_add_u32_e32 v4, s4, v4
	;; [unrolled: 3-line block ×3, first 2 shown]
	v_lshlrev_b32_e32 v3, 3, v2
	buffer_store_dwordx2 v[10:11], v3, s[0:3], 0 offen
	v_subrev_u32_e32 v2, s5, v2
	v_lshlrev_b32_e32 v3, 3, v2
	buffer_store_dwordx2 v[8:9], v3, s[0:3], 0 offen
	v_subrev_u32_e32 v2, s4, v2
	;; [unrolled: 3-line block ×4, first 2 shown]
	v_lshlrev_b32_e32 v0, 3, v0
	buffer_store_dwordx2 v[42:43], v0, s[0:3], 0 offen
	s_endpgm
	.section	.rodata,"a",@progbits
	.p2align	6, 0x0
	.amdhsa_kernel _ZN2ck23kernel_gemm_xdlops_v2r3INS_43GridwiseGemm_k0mk1_k0nk1_mn_xdlops_v2r3_extILi256EdddLNS_25InMemoryDataOperationEnumE0ENS_13tensor_layout4gemm8RowMajorENS4_11ColumnMajorES5_NS_16tensor_operation12element_wise11PassThroughES9_S9_LNS7_6device18GemmSpecializationE0ELi128ELi128ELi4ELi16ELi16ELi2ELi4ELi4ENS_8SequenceIJLi4ELi64ELi1EEEENSC_IJLi1ELi0ELi2EEEESE_Li2ELi2ELi2ELb0ELb1ESD_SE_SE_Li2ELi2ELi2ELb0ELb1ENSC_IJLi0ELi2ELi4ELi5ELi6ELi1ELi3ELi7EEEELi7ELi1ELi1ELNS_13LoopSchedulerE0ELNS_15PipelineVersionE0EEELb0EEEvNT_8ArgumentE
		.amdhsa_group_segment_fixed_size 16480
		.amdhsa_private_segment_fixed_size 0
		.amdhsa_kernarg_size 80
		.amdhsa_user_sgpr_count 2
		.amdhsa_user_sgpr_dispatch_ptr 0
		.amdhsa_user_sgpr_queue_ptr 0
		.amdhsa_user_sgpr_kernarg_segment_ptr 1
		.amdhsa_user_sgpr_dispatch_id 0
		.amdhsa_user_sgpr_kernarg_preload_length 0
		.amdhsa_user_sgpr_kernarg_preload_offset 0
		.amdhsa_user_sgpr_private_segment_size 0
		.amdhsa_uses_dynamic_stack 0
		.amdhsa_enable_private_segment 0
		.amdhsa_system_sgpr_workgroup_id_x 1
		.amdhsa_system_sgpr_workgroup_id_y 0
		.amdhsa_system_sgpr_workgroup_id_z 0
		.amdhsa_system_sgpr_workgroup_info 0
		.amdhsa_system_vgpr_workitem_id 0
		.amdhsa_next_free_vgpr 61
		.amdhsa_next_free_sgpr 18
		.amdhsa_accum_offset 64
		.amdhsa_reserve_vcc 0
		.amdhsa_float_round_mode_32 0
		.amdhsa_float_round_mode_16_64 0
		.amdhsa_float_denorm_mode_32 3
		.amdhsa_float_denorm_mode_16_64 3
		.amdhsa_dx10_clamp 1
		.amdhsa_ieee_mode 1
		.amdhsa_fp16_overflow 0
		.amdhsa_tg_split 0
		.amdhsa_exception_fp_ieee_invalid_op 0
		.amdhsa_exception_fp_denorm_src 0
		.amdhsa_exception_fp_ieee_div_zero 0
		.amdhsa_exception_fp_ieee_overflow 0
		.amdhsa_exception_fp_ieee_underflow 0
		.amdhsa_exception_fp_ieee_inexact 0
		.amdhsa_exception_int_div_zero 0
	.end_amdhsa_kernel
	.section	.text._ZN2ck23kernel_gemm_xdlops_v2r3INS_43GridwiseGemm_k0mk1_k0nk1_mn_xdlops_v2r3_extILi256EdddLNS_25InMemoryDataOperationEnumE0ENS_13tensor_layout4gemm8RowMajorENS4_11ColumnMajorES5_NS_16tensor_operation12element_wise11PassThroughES9_S9_LNS7_6device18GemmSpecializationE0ELi128ELi128ELi4ELi16ELi16ELi2ELi4ELi4ENS_8SequenceIJLi4ELi64ELi1EEEENSC_IJLi1ELi0ELi2EEEESE_Li2ELi2ELi2ELb0ELb1ESD_SE_SE_Li2ELi2ELi2ELb0ELb1ENSC_IJLi0ELi2ELi4ELi5ELi6ELi1ELi3ELi7EEEELi7ELi1ELi1ELNS_13LoopSchedulerE0ELNS_15PipelineVersionE0EEELb0EEEvNT_8ArgumentE,"axG",@progbits,_ZN2ck23kernel_gemm_xdlops_v2r3INS_43GridwiseGemm_k0mk1_k0nk1_mn_xdlops_v2r3_extILi256EdddLNS_25InMemoryDataOperationEnumE0ENS_13tensor_layout4gemm8RowMajorENS4_11ColumnMajorES5_NS_16tensor_operation12element_wise11PassThroughES9_S9_LNS7_6device18GemmSpecializationE0ELi128ELi128ELi4ELi16ELi16ELi2ELi4ELi4ENS_8SequenceIJLi4ELi64ELi1EEEENSC_IJLi1ELi0ELi2EEEESE_Li2ELi2ELi2ELb0ELb1ESD_SE_SE_Li2ELi2ELi2ELb0ELb1ENSC_IJLi0ELi2ELi4ELi5ELi6ELi1ELi3ELi7EEEELi7ELi1ELi1ELNS_13LoopSchedulerE0ELNS_15PipelineVersionE0EEELb0EEEvNT_8ArgumentE,comdat
.Lfunc_end2:
	.size	_ZN2ck23kernel_gemm_xdlops_v2r3INS_43GridwiseGemm_k0mk1_k0nk1_mn_xdlops_v2r3_extILi256EdddLNS_25InMemoryDataOperationEnumE0ENS_13tensor_layout4gemm8RowMajorENS4_11ColumnMajorES5_NS_16tensor_operation12element_wise11PassThroughES9_S9_LNS7_6device18GemmSpecializationE0ELi128ELi128ELi4ELi16ELi16ELi2ELi4ELi4ENS_8SequenceIJLi4ELi64ELi1EEEENSC_IJLi1ELi0ELi2EEEESE_Li2ELi2ELi2ELb0ELb1ESD_SE_SE_Li2ELi2ELi2ELb0ELb1ENSC_IJLi0ELi2ELi4ELi5ELi6ELi1ELi3ELi7EEEELi7ELi1ELi1ELNS_13LoopSchedulerE0ELNS_15PipelineVersionE0EEELb0EEEvNT_8ArgumentE, .Lfunc_end2-_ZN2ck23kernel_gemm_xdlops_v2r3INS_43GridwiseGemm_k0mk1_k0nk1_mn_xdlops_v2r3_extILi256EdddLNS_25InMemoryDataOperationEnumE0ENS_13tensor_layout4gemm8RowMajorENS4_11ColumnMajorES5_NS_16tensor_operation12element_wise11PassThroughES9_S9_LNS7_6device18GemmSpecializationE0ELi128ELi128ELi4ELi16ELi16ELi2ELi4ELi4ENS_8SequenceIJLi4ELi64ELi1EEEENSC_IJLi1ELi0ELi2EEEESE_Li2ELi2ELi2ELb0ELb1ESD_SE_SE_Li2ELi2ELi2ELb0ELb1ENSC_IJLi0ELi2ELi4ELi5ELi6ELi1ELi3ELi7EEEELi7ELi1ELi1ELNS_13LoopSchedulerE0ELNS_15PipelineVersionE0EEELb0EEEvNT_8ArgumentE
                                        ; -- End function
	.set _ZN2ck23kernel_gemm_xdlops_v2r3INS_43GridwiseGemm_k0mk1_k0nk1_mn_xdlops_v2r3_extILi256EdddLNS_25InMemoryDataOperationEnumE0ENS_13tensor_layout4gemm8RowMajorENS4_11ColumnMajorES5_NS_16tensor_operation12element_wise11PassThroughES9_S9_LNS7_6device18GemmSpecializationE0ELi128ELi128ELi4ELi16ELi16ELi2ELi4ELi4ENS_8SequenceIJLi4ELi64ELi1EEEENSC_IJLi1ELi0ELi2EEEESE_Li2ELi2ELi2ELb0ELb1ESD_SE_SE_Li2ELi2ELi2ELb0ELb1ENSC_IJLi0ELi2ELi4ELi5ELi6ELi1ELi3ELi7EEEELi7ELi1ELi1ELNS_13LoopSchedulerE0ELNS_15PipelineVersionE0EEELb0EEEvNT_8ArgumentE.num_vgpr, 61
	.set _ZN2ck23kernel_gemm_xdlops_v2r3INS_43GridwiseGemm_k0mk1_k0nk1_mn_xdlops_v2r3_extILi256EdddLNS_25InMemoryDataOperationEnumE0ENS_13tensor_layout4gemm8RowMajorENS4_11ColumnMajorES5_NS_16tensor_operation12element_wise11PassThroughES9_S9_LNS7_6device18GemmSpecializationE0ELi128ELi128ELi4ELi16ELi16ELi2ELi4ELi4ENS_8SequenceIJLi4ELi64ELi1EEEENSC_IJLi1ELi0ELi2EEEESE_Li2ELi2ELi2ELb0ELb1ESD_SE_SE_Li2ELi2ELi2ELb0ELb1ENSC_IJLi0ELi2ELi4ELi5ELi6ELi1ELi3ELi7EEEELi7ELi1ELi1ELNS_13LoopSchedulerE0ELNS_15PipelineVersionE0EEELb0EEEvNT_8ArgumentE.num_agpr, 0
	.set _ZN2ck23kernel_gemm_xdlops_v2r3INS_43GridwiseGemm_k0mk1_k0nk1_mn_xdlops_v2r3_extILi256EdddLNS_25InMemoryDataOperationEnumE0ENS_13tensor_layout4gemm8RowMajorENS4_11ColumnMajorES5_NS_16tensor_operation12element_wise11PassThroughES9_S9_LNS7_6device18GemmSpecializationE0ELi128ELi128ELi4ELi16ELi16ELi2ELi4ELi4ENS_8SequenceIJLi4ELi64ELi1EEEENSC_IJLi1ELi0ELi2EEEESE_Li2ELi2ELi2ELb0ELb1ESD_SE_SE_Li2ELi2ELi2ELb0ELb1ENSC_IJLi0ELi2ELi4ELi5ELi6ELi1ELi3ELi7EEEELi7ELi1ELi1ELNS_13LoopSchedulerE0ELNS_15PipelineVersionE0EEELb0EEEvNT_8ArgumentE.numbered_sgpr, 18
	.set _ZN2ck23kernel_gemm_xdlops_v2r3INS_43GridwiseGemm_k0mk1_k0nk1_mn_xdlops_v2r3_extILi256EdddLNS_25InMemoryDataOperationEnumE0ENS_13tensor_layout4gemm8RowMajorENS4_11ColumnMajorES5_NS_16tensor_operation12element_wise11PassThroughES9_S9_LNS7_6device18GemmSpecializationE0ELi128ELi128ELi4ELi16ELi16ELi2ELi4ELi4ENS_8SequenceIJLi4ELi64ELi1EEEENSC_IJLi1ELi0ELi2EEEESE_Li2ELi2ELi2ELb0ELb1ESD_SE_SE_Li2ELi2ELi2ELb0ELb1ENSC_IJLi0ELi2ELi4ELi5ELi6ELi1ELi3ELi7EEEELi7ELi1ELi1ELNS_13LoopSchedulerE0ELNS_15PipelineVersionE0EEELb0EEEvNT_8ArgumentE.num_named_barrier, 0
	.set _ZN2ck23kernel_gemm_xdlops_v2r3INS_43GridwiseGemm_k0mk1_k0nk1_mn_xdlops_v2r3_extILi256EdddLNS_25InMemoryDataOperationEnumE0ENS_13tensor_layout4gemm8RowMajorENS4_11ColumnMajorES5_NS_16tensor_operation12element_wise11PassThroughES9_S9_LNS7_6device18GemmSpecializationE0ELi128ELi128ELi4ELi16ELi16ELi2ELi4ELi4ENS_8SequenceIJLi4ELi64ELi1EEEENSC_IJLi1ELi0ELi2EEEESE_Li2ELi2ELi2ELb0ELb1ESD_SE_SE_Li2ELi2ELi2ELb0ELb1ENSC_IJLi0ELi2ELi4ELi5ELi6ELi1ELi3ELi7EEEELi7ELi1ELi1ELNS_13LoopSchedulerE0ELNS_15PipelineVersionE0EEELb0EEEvNT_8ArgumentE.private_seg_size, 0
	.set _ZN2ck23kernel_gemm_xdlops_v2r3INS_43GridwiseGemm_k0mk1_k0nk1_mn_xdlops_v2r3_extILi256EdddLNS_25InMemoryDataOperationEnumE0ENS_13tensor_layout4gemm8RowMajorENS4_11ColumnMajorES5_NS_16tensor_operation12element_wise11PassThroughES9_S9_LNS7_6device18GemmSpecializationE0ELi128ELi128ELi4ELi16ELi16ELi2ELi4ELi4ENS_8SequenceIJLi4ELi64ELi1EEEENSC_IJLi1ELi0ELi2EEEESE_Li2ELi2ELi2ELb0ELb1ESD_SE_SE_Li2ELi2ELi2ELb0ELb1ENSC_IJLi0ELi2ELi4ELi5ELi6ELi1ELi3ELi7EEEELi7ELi1ELi1ELNS_13LoopSchedulerE0ELNS_15PipelineVersionE0EEELb0EEEvNT_8ArgumentE.uses_vcc, 0
	.set _ZN2ck23kernel_gemm_xdlops_v2r3INS_43GridwiseGemm_k0mk1_k0nk1_mn_xdlops_v2r3_extILi256EdddLNS_25InMemoryDataOperationEnumE0ENS_13tensor_layout4gemm8RowMajorENS4_11ColumnMajorES5_NS_16tensor_operation12element_wise11PassThroughES9_S9_LNS7_6device18GemmSpecializationE0ELi128ELi128ELi4ELi16ELi16ELi2ELi4ELi4ENS_8SequenceIJLi4ELi64ELi1EEEENSC_IJLi1ELi0ELi2EEEESE_Li2ELi2ELi2ELb0ELb1ESD_SE_SE_Li2ELi2ELi2ELb0ELb1ENSC_IJLi0ELi2ELi4ELi5ELi6ELi1ELi3ELi7EEEELi7ELi1ELi1ELNS_13LoopSchedulerE0ELNS_15PipelineVersionE0EEELb0EEEvNT_8ArgumentE.uses_flat_scratch, 0
	.set _ZN2ck23kernel_gemm_xdlops_v2r3INS_43GridwiseGemm_k0mk1_k0nk1_mn_xdlops_v2r3_extILi256EdddLNS_25InMemoryDataOperationEnumE0ENS_13tensor_layout4gemm8RowMajorENS4_11ColumnMajorES5_NS_16tensor_operation12element_wise11PassThroughES9_S9_LNS7_6device18GemmSpecializationE0ELi128ELi128ELi4ELi16ELi16ELi2ELi4ELi4ENS_8SequenceIJLi4ELi64ELi1EEEENSC_IJLi1ELi0ELi2EEEESE_Li2ELi2ELi2ELb0ELb1ESD_SE_SE_Li2ELi2ELi2ELb0ELb1ENSC_IJLi0ELi2ELi4ELi5ELi6ELi1ELi3ELi7EEEELi7ELi1ELi1ELNS_13LoopSchedulerE0ELNS_15PipelineVersionE0EEELb0EEEvNT_8ArgumentE.has_dyn_sized_stack, 0
	.set _ZN2ck23kernel_gemm_xdlops_v2r3INS_43GridwiseGemm_k0mk1_k0nk1_mn_xdlops_v2r3_extILi256EdddLNS_25InMemoryDataOperationEnumE0ENS_13tensor_layout4gemm8RowMajorENS4_11ColumnMajorES5_NS_16tensor_operation12element_wise11PassThroughES9_S9_LNS7_6device18GemmSpecializationE0ELi128ELi128ELi4ELi16ELi16ELi2ELi4ELi4ENS_8SequenceIJLi4ELi64ELi1EEEENSC_IJLi1ELi0ELi2EEEESE_Li2ELi2ELi2ELb0ELb1ESD_SE_SE_Li2ELi2ELi2ELb0ELb1ENSC_IJLi0ELi2ELi4ELi5ELi6ELi1ELi3ELi7EEEELi7ELi1ELi1ELNS_13LoopSchedulerE0ELNS_15PipelineVersionE0EEELb0EEEvNT_8ArgumentE.has_recursion, 0
	.set _ZN2ck23kernel_gemm_xdlops_v2r3INS_43GridwiseGemm_k0mk1_k0nk1_mn_xdlops_v2r3_extILi256EdddLNS_25InMemoryDataOperationEnumE0ENS_13tensor_layout4gemm8RowMajorENS4_11ColumnMajorES5_NS_16tensor_operation12element_wise11PassThroughES9_S9_LNS7_6device18GemmSpecializationE0ELi128ELi128ELi4ELi16ELi16ELi2ELi4ELi4ENS_8SequenceIJLi4ELi64ELi1EEEENSC_IJLi1ELi0ELi2EEEESE_Li2ELi2ELi2ELb0ELb1ESD_SE_SE_Li2ELi2ELi2ELb0ELb1ENSC_IJLi0ELi2ELi4ELi5ELi6ELi1ELi3ELi7EEEELi7ELi1ELi1ELNS_13LoopSchedulerE0ELNS_15PipelineVersionE0EEELb0EEEvNT_8ArgumentE.has_indirect_call, 0
	.section	.AMDGPU.csdata,"",@progbits
; Kernel info:
; codeLenInByte = 2336
; TotalNumSgprs: 24
; NumVgprs: 61
; NumAgprs: 0
; TotalNumVgprs: 61
; ScratchSize: 0
; MemoryBound: 0
; FloatMode: 240
; IeeeMode: 1
; LDSByteSize: 16480 bytes/workgroup (compile time only)
; SGPRBlocks: 2
; VGPRBlocks: 7
; NumSGPRsForWavesPerEU: 24
; NumVGPRsForWavesPerEU: 61
; AccumOffset: 64
; Occupancy: 8
; WaveLimiterHint : 0
; COMPUTE_PGM_RSRC2:SCRATCH_EN: 0
; COMPUTE_PGM_RSRC2:USER_SGPR: 2
; COMPUTE_PGM_RSRC2:TRAP_HANDLER: 0
; COMPUTE_PGM_RSRC2:TGID_X_EN: 1
; COMPUTE_PGM_RSRC2:TGID_Y_EN: 0
; COMPUTE_PGM_RSRC2:TGID_Z_EN: 0
; COMPUTE_PGM_RSRC2:TIDIG_COMP_CNT: 0
; COMPUTE_PGM_RSRC3_GFX90A:ACCUM_OFFSET: 15
; COMPUTE_PGM_RSRC3_GFX90A:TG_SPLIT: 0
	.section	.text._ZN2ck23kernel_gemm_xdlops_v2r3INS_43GridwiseGemm_k0mk1_k0nk1_mn_xdlops_v2r3_extILi256EdddLNS_25InMemoryDataOperationEnumE0ENS_13tensor_layout4gemm8RowMajorENS4_11ColumnMajorES5_NS_16tensor_operation12element_wise11PassThroughES9_S9_LNS7_6device18GemmSpecializationE0ELi128ELi128ELi4ELi16ELi16ELi2ELi4ELi2ENS_8SequenceIJLi4ELi64ELi1EEEENSC_IJLi1ELi0ELi2EEEESE_Li2ELi2ELi2ELb0ELb1ESD_SE_SE_Li2ELi2ELi2ELb0ELb1ENSC_IJLi0ELi2ELi4ELi5ELi6ELi1ELi3ELi7EEEELi7ELi1ELi1ELNS_13LoopSchedulerE0ELNS_15PipelineVersionE0EEELb1EEEvNT_8ArgumentE,"axG",@progbits,_ZN2ck23kernel_gemm_xdlops_v2r3INS_43GridwiseGemm_k0mk1_k0nk1_mn_xdlops_v2r3_extILi256EdddLNS_25InMemoryDataOperationEnumE0ENS_13tensor_layout4gemm8RowMajorENS4_11ColumnMajorES5_NS_16tensor_operation12element_wise11PassThroughES9_S9_LNS7_6device18GemmSpecializationE0ELi128ELi128ELi4ELi16ELi16ELi2ELi4ELi2ENS_8SequenceIJLi4ELi64ELi1EEEENSC_IJLi1ELi0ELi2EEEESE_Li2ELi2ELi2ELb0ELb1ESD_SE_SE_Li2ELi2ELi2ELb0ELb1ENSC_IJLi0ELi2ELi4ELi5ELi6ELi1ELi3ELi7EEEELi7ELi1ELi1ELNS_13LoopSchedulerE0ELNS_15PipelineVersionE0EEELb1EEEvNT_8ArgumentE,comdat
	.protected	_ZN2ck23kernel_gemm_xdlops_v2r3INS_43GridwiseGemm_k0mk1_k0nk1_mn_xdlops_v2r3_extILi256EdddLNS_25InMemoryDataOperationEnumE0ENS_13tensor_layout4gemm8RowMajorENS4_11ColumnMajorES5_NS_16tensor_operation12element_wise11PassThroughES9_S9_LNS7_6device18GemmSpecializationE0ELi128ELi128ELi4ELi16ELi16ELi2ELi4ELi2ENS_8SequenceIJLi4ELi64ELi1EEEENSC_IJLi1ELi0ELi2EEEESE_Li2ELi2ELi2ELb0ELb1ESD_SE_SE_Li2ELi2ELi2ELb0ELb1ENSC_IJLi0ELi2ELi4ELi5ELi6ELi1ELi3ELi7EEEELi7ELi1ELi1ELNS_13LoopSchedulerE0ELNS_15PipelineVersionE0EEELb1EEEvNT_8ArgumentE ; -- Begin function _ZN2ck23kernel_gemm_xdlops_v2r3INS_43GridwiseGemm_k0mk1_k0nk1_mn_xdlops_v2r3_extILi256EdddLNS_25InMemoryDataOperationEnumE0ENS_13tensor_layout4gemm8RowMajorENS4_11ColumnMajorES5_NS_16tensor_operation12element_wise11PassThroughES9_S9_LNS7_6device18GemmSpecializationE0ELi128ELi128ELi4ELi16ELi16ELi2ELi4ELi2ENS_8SequenceIJLi4ELi64ELi1EEEENSC_IJLi1ELi0ELi2EEEESE_Li2ELi2ELi2ELb0ELb1ESD_SE_SE_Li2ELi2ELi2ELb0ELb1ENSC_IJLi0ELi2ELi4ELi5ELi6ELi1ELi3ELi7EEEELi7ELi1ELi1ELNS_13LoopSchedulerE0ELNS_15PipelineVersionE0EEELb1EEEvNT_8ArgumentE
	.globl	_ZN2ck23kernel_gemm_xdlops_v2r3INS_43GridwiseGemm_k0mk1_k0nk1_mn_xdlops_v2r3_extILi256EdddLNS_25InMemoryDataOperationEnumE0ENS_13tensor_layout4gemm8RowMajorENS4_11ColumnMajorES5_NS_16tensor_operation12element_wise11PassThroughES9_S9_LNS7_6device18GemmSpecializationE0ELi128ELi128ELi4ELi16ELi16ELi2ELi4ELi2ENS_8SequenceIJLi4ELi64ELi1EEEENSC_IJLi1ELi0ELi2EEEESE_Li2ELi2ELi2ELb0ELb1ESD_SE_SE_Li2ELi2ELi2ELb0ELb1ENSC_IJLi0ELi2ELi4ELi5ELi6ELi1ELi3ELi7EEEELi7ELi1ELi1ELNS_13LoopSchedulerE0ELNS_15PipelineVersionE0EEELb1EEEvNT_8ArgumentE
	.p2align	8
	.type	_ZN2ck23kernel_gemm_xdlops_v2r3INS_43GridwiseGemm_k0mk1_k0nk1_mn_xdlops_v2r3_extILi256EdddLNS_25InMemoryDataOperationEnumE0ENS_13tensor_layout4gemm8RowMajorENS4_11ColumnMajorES5_NS_16tensor_operation12element_wise11PassThroughES9_S9_LNS7_6device18GemmSpecializationE0ELi128ELi128ELi4ELi16ELi16ELi2ELi4ELi2ENS_8SequenceIJLi4ELi64ELi1EEEENSC_IJLi1ELi0ELi2EEEESE_Li2ELi2ELi2ELb0ELb1ESD_SE_SE_Li2ELi2ELi2ELb0ELb1ENSC_IJLi0ELi2ELi4ELi5ELi6ELi1ELi3ELi7EEEELi7ELi1ELi1ELNS_13LoopSchedulerE0ELNS_15PipelineVersionE0EEELb1EEEvNT_8ArgumentE,@function
_ZN2ck23kernel_gemm_xdlops_v2r3INS_43GridwiseGemm_k0mk1_k0nk1_mn_xdlops_v2r3_extILi256EdddLNS_25InMemoryDataOperationEnumE0ENS_13tensor_layout4gemm8RowMajorENS4_11ColumnMajorES5_NS_16tensor_operation12element_wise11PassThroughES9_S9_LNS7_6device18GemmSpecializationE0ELi128ELi128ELi4ELi16ELi16ELi2ELi4ELi2ENS_8SequenceIJLi4ELi64ELi1EEEENSC_IJLi1ELi0ELi2EEEESE_Li2ELi2ELi2ELb0ELb1ESD_SE_SE_Li2ELi2ELi2ELb0ELb1ENSC_IJLi0ELi2ELi4ELi5ELi6ELi1ELi3ELi7EEEELi7ELi1ELi1ELNS_13LoopSchedulerE0ELNS_15PipelineVersionE0EEELb1EEEvNT_8ArgumentE: ; @_ZN2ck23kernel_gemm_xdlops_v2r3INS_43GridwiseGemm_k0mk1_k0nk1_mn_xdlops_v2r3_extILi256EdddLNS_25InMemoryDataOperationEnumE0ENS_13tensor_layout4gemm8RowMajorENS4_11ColumnMajorES5_NS_16tensor_operation12element_wise11PassThroughES9_S9_LNS7_6device18GemmSpecializationE0ELi128ELi128ELi4ELi16ELi16ELi2ELi4ELi2ENS_8SequenceIJLi4ELi64ELi1EEEENSC_IJLi1ELi0ELi2EEEESE_Li2ELi2ELi2ELb0ELb1ESD_SE_SE_Li2ELi2ELi2ELb0ELb1ENSC_IJLi0ELi2ELi4ELi5ELi6ELi1ELi3ELi7EEEELi7ELi1ELi1ELNS_13LoopSchedulerE0ELNS_15PipelineVersionE0EEELb1EEEvNT_8ArgumentE
; %bb.0:
	s_endpgm
	.section	.rodata,"a",@progbits
	.p2align	6, 0x0
	.amdhsa_kernel _ZN2ck23kernel_gemm_xdlops_v2r3INS_43GridwiseGemm_k0mk1_k0nk1_mn_xdlops_v2r3_extILi256EdddLNS_25InMemoryDataOperationEnumE0ENS_13tensor_layout4gemm8RowMajorENS4_11ColumnMajorES5_NS_16tensor_operation12element_wise11PassThroughES9_S9_LNS7_6device18GemmSpecializationE0ELi128ELi128ELi4ELi16ELi16ELi2ELi4ELi2ENS_8SequenceIJLi4ELi64ELi1EEEENSC_IJLi1ELi0ELi2EEEESE_Li2ELi2ELi2ELb0ELb1ESD_SE_SE_Li2ELi2ELi2ELb0ELb1ENSC_IJLi0ELi2ELi4ELi5ELi6ELi1ELi3ELi7EEEELi7ELi1ELi1ELNS_13LoopSchedulerE0ELNS_15PipelineVersionE0EEELb1EEEvNT_8ArgumentE
		.amdhsa_group_segment_fixed_size 0
		.amdhsa_private_segment_fixed_size 0
		.amdhsa_kernarg_size 80
		.amdhsa_user_sgpr_count 2
		.amdhsa_user_sgpr_dispatch_ptr 0
		.amdhsa_user_sgpr_queue_ptr 0
		.amdhsa_user_sgpr_kernarg_segment_ptr 1
		.amdhsa_user_sgpr_dispatch_id 0
		.amdhsa_user_sgpr_kernarg_preload_length 0
		.amdhsa_user_sgpr_kernarg_preload_offset 0
		.amdhsa_user_sgpr_private_segment_size 0
		.amdhsa_uses_dynamic_stack 0
		.amdhsa_enable_private_segment 0
		.amdhsa_system_sgpr_workgroup_id_x 1
		.amdhsa_system_sgpr_workgroup_id_y 0
		.amdhsa_system_sgpr_workgroup_id_z 0
		.amdhsa_system_sgpr_workgroup_info 0
		.amdhsa_system_vgpr_workitem_id 0
		.amdhsa_next_free_vgpr 1
		.amdhsa_next_free_sgpr 0
		.amdhsa_accum_offset 4
		.amdhsa_reserve_vcc 0
		.amdhsa_float_round_mode_32 0
		.amdhsa_float_round_mode_16_64 0
		.amdhsa_float_denorm_mode_32 3
		.amdhsa_float_denorm_mode_16_64 3
		.amdhsa_dx10_clamp 1
		.amdhsa_ieee_mode 1
		.amdhsa_fp16_overflow 0
		.amdhsa_tg_split 0
		.amdhsa_exception_fp_ieee_invalid_op 0
		.amdhsa_exception_fp_denorm_src 0
		.amdhsa_exception_fp_ieee_div_zero 0
		.amdhsa_exception_fp_ieee_overflow 0
		.amdhsa_exception_fp_ieee_underflow 0
		.amdhsa_exception_fp_ieee_inexact 0
		.amdhsa_exception_int_div_zero 0
	.end_amdhsa_kernel
	.section	.text._ZN2ck23kernel_gemm_xdlops_v2r3INS_43GridwiseGemm_k0mk1_k0nk1_mn_xdlops_v2r3_extILi256EdddLNS_25InMemoryDataOperationEnumE0ENS_13tensor_layout4gemm8RowMajorENS4_11ColumnMajorES5_NS_16tensor_operation12element_wise11PassThroughES9_S9_LNS7_6device18GemmSpecializationE0ELi128ELi128ELi4ELi16ELi16ELi2ELi4ELi2ENS_8SequenceIJLi4ELi64ELi1EEEENSC_IJLi1ELi0ELi2EEEESE_Li2ELi2ELi2ELb0ELb1ESD_SE_SE_Li2ELi2ELi2ELb0ELb1ENSC_IJLi0ELi2ELi4ELi5ELi6ELi1ELi3ELi7EEEELi7ELi1ELi1ELNS_13LoopSchedulerE0ELNS_15PipelineVersionE0EEELb1EEEvNT_8ArgumentE,"axG",@progbits,_ZN2ck23kernel_gemm_xdlops_v2r3INS_43GridwiseGemm_k0mk1_k0nk1_mn_xdlops_v2r3_extILi256EdddLNS_25InMemoryDataOperationEnumE0ENS_13tensor_layout4gemm8RowMajorENS4_11ColumnMajorES5_NS_16tensor_operation12element_wise11PassThroughES9_S9_LNS7_6device18GemmSpecializationE0ELi128ELi128ELi4ELi16ELi16ELi2ELi4ELi2ENS_8SequenceIJLi4ELi64ELi1EEEENSC_IJLi1ELi0ELi2EEEESE_Li2ELi2ELi2ELb0ELb1ESD_SE_SE_Li2ELi2ELi2ELb0ELb1ENSC_IJLi0ELi2ELi4ELi5ELi6ELi1ELi3ELi7EEEELi7ELi1ELi1ELNS_13LoopSchedulerE0ELNS_15PipelineVersionE0EEELb1EEEvNT_8ArgumentE,comdat
.Lfunc_end3:
	.size	_ZN2ck23kernel_gemm_xdlops_v2r3INS_43GridwiseGemm_k0mk1_k0nk1_mn_xdlops_v2r3_extILi256EdddLNS_25InMemoryDataOperationEnumE0ENS_13tensor_layout4gemm8RowMajorENS4_11ColumnMajorES5_NS_16tensor_operation12element_wise11PassThroughES9_S9_LNS7_6device18GemmSpecializationE0ELi128ELi128ELi4ELi16ELi16ELi2ELi4ELi2ENS_8SequenceIJLi4ELi64ELi1EEEENSC_IJLi1ELi0ELi2EEEESE_Li2ELi2ELi2ELb0ELb1ESD_SE_SE_Li2ELi2ELi2ELb0ELb1ENSC_IJLi0ELi2ELi4ELi5ELi6ELi1ELi3ELi7EEEELi7ELi1ELi1ELNS_13LoopSchedulerE0ELNS_15PipelineVersionE0EEELb1EEEvNT_8ArgumentE, .Lfunc_end3-_ZN2ck23kernel_gemm_xdlops_v2r3INS_43GridwiseGemm_k0mk1_k0nk1_mn_xdlops_v2r3_extILi256EdddLNS_25InMemoryDataOperationEnumE0ENS_13tensor_layout4gemm8RowMajorENS4_11ColumnMajorES5_NS_16tensor_operation12element_wise11PassThroughES9_S9_LNS7_6device18GemmSpecializationE0ELi128ELi128ELi4ELi16ELi16ELi2ELi4ELi2ENS_8SequenceIJLi4ELi64ELi1EEEENSC_IJLi1ELi0ELi2EEEESE_Li2ELi2ELi2ELb0ELb1ESD_SE_SE_Li2ELi2ELi2ELb0ELb1ENSC_IJLi0ELi2ELi4ELi5ELi6ELi1ELi3ELi7EEEELi7ELi1ELi1ELNS_13LoopSchedulerE0ELNS_15PipelineVersionE0EEELb1EEEvNT_8ArgumentE
                                        ; -- End function
	.set _ZN2ck23kernel_gemm_xdlops_v2r3INS_43GridwiseGemm_k0mk1_k0nk1_mn_xdlops_v2r3_extILi256EdddLNS_25InMemoryDataOperationEnumE0ENS_13tensor_layout4gemm8RowMajorENS4_11ColumnMajorES5_NS_16tensor_operation12element_wise11PassThroughES9_S9_LNS7_6device18GemmSpecializationE0ELi128ELi128ELi4ELi16ELi16ELi2ELi4ELi2ENS_8SequenceIJLi4ELi64ELi1EEEENSC_IJLi1ELi0ELi2EEEESE_Li2ELi2ELi2ELb0ELb1ESD_SE_SE_Li2ELi2ELi2ELb0ELb1ENSC_IJLi0ELi2ELi4ELi5ELi6ELi1ELi3ELi7EEEELi7ELi1ELi1ELNS_13LoopSchedulerE0ELNS_15PipelineVersionE0EEELb1EEEvNT_8ArgumentE.num_vgpr, 0
	.set _ZN2ck23kernel_gemm_xdlops_v2r3INS_43GridwiseGemm_k0mk1_k0nk1_mn_xdlops_v2r3_extILi256EdddLNS_25InMemoryDataOperationEnumE0ENS_13tensor_layout4gemm8RowMajorENS4_11ColumnMajorES5_NS_16tensor_operation12element_wise11PassThroughES9_S9_LNS7_6device18GemmSpecializationE0ELi128ELi128ELi4ELi16ELi16ELi2ELi4ELi2ENS_8SequenceIJLi4ELi64ELi1EEEENSC_IJLi1ELi0ELi2EEEESE_Li2ELi2ELi2ELb0ELb1ESD_SE_SE_Li2ELi2ELi2ELb0ELb1ENSC_IJLi0ELi2ELi4ELi5ELi6ELi1ELi3ELi7EEEELi7ELi1ELi1ELNS_13LoopSchedulerE0ELNS_15PipelineVersionE0EEELb1EEEvNT_8ArgumentE.num_agpr, 0
	.set _ZN2ck23kernel_gemm_xdlops_v2r3INS_43GridwiseGemm_k0mk1_k0nk1_mn_xdlops_v2r3_extILi256EdddLNS_25InMemoryDataOperationEnumE0ENS_13tensor_layout4gemm8RowMajorENS4_11ColumnMajorES5_NS_16tensor_operation12element_wise11PassThroughES9_S9_LNS7_6device18GemmSpecializationE0ELi128ELi128ELi4ELi16ELi16ELi2ELi4ELi2ENS_8SequenceIJLi4ELi64ELi1EEEENSC_IJLi1ELi0ELi2EEEESE_Li2ELi2ELi2ELb0ELb1ESD_SE_SE_Li2ELi2ELi2ELb0ELb1ENSC_IJLi0ELi2ELi4ELi5ELi6ELi1ELi3ELi7EEEELi7ELi1ELi1ELNS_13LoopSchedulerE0ELNS_15PipelineVersionE0EEELb1EEEvNT_8ArgumentE.numbered_sgpr, 0
	.set _ZN2ck23kernel_gemm_xdlops_v2r3INS_43GridwiseGemm_k0mk1_k0nk1_mn_xdlops_v2r3_extILi256EdddLNS_25InMemoryDataOperationEnumE0ENS_13tensor_layout4gemm8RowMajorENS4_11ColumnMajorES5_NS_16tensor_operation12element_wise11PassThroughES9_S9_LNS7_6device18GemmSpecializationE0ELi128ELi128ELi4ELi16ELi16ELi2ELi4ELi2ENS_8SequenceIJLi4ELi64ELi1EEEENSC_IJLi1ELi0ELi2EEEESE_Li2ELi2ELi2ELb0ELb1ESD_SE_SE_Li2ELi2ELi2ELb0ELb1ENSC_IJLi0ELi2ELi4ELi5ELi6ELi1ELi3ELi7EEEELi7ELi1ELi1ELNS_13LoopSchedulerE0ELNS_15PipelineVersionE0EEELb1EEEvNT_8ArgumentE.num_named_barrier, 0
	.set _ZN2ck23kernel_gemm_xdlops_v2r3INS_43GridwiseGemm_k0mk1_k0nk1_mn_xdlops_v2r3_extILi256EdddLNS_25InMemoryDataOperationEnumE0ENS_13tensor_layout4gemm8RowMajorENS4_11ColumnMajorES5_NS_16tensor_operation12element_wise11PassThroughES9_S9_LNS7_6device18GemmSpecializationE0ELi128ELi128ELi4ELi16ELi16ELi2ELi4ELi2ENS_8SequenceIJLi4ELi64ELi1EEEENSC_IJLi1ELi0ELi2EEEESE_Li2ELi2ELi2ELb0ELb1ESD_SE_SE_Li2ELi2ELi2ELb0ELb1ENSC_IJLi0ELi2ELi4ELi5ELi6ELi1ELi3ELi7EEEELi7ELi1ELi1ELNS_13LoopSchedulerE0ELNS_15PipelineVersionE0EEELb1EEEvNT_8ArgumentE.private_seg_size, 0
	.set _ZN2ck23kernel_gemm_xdlops_v2r3INS_43GridwiseGemm_k0mk1_k0nk1_mn_xdlops_v2r3_extILi256EdddLNS_25InMemoryDataOperationEnumE0ENS_13tensor_layout4gemm8RowMajorENS4_11ColumnMajorES5_NS_16tensor_operation12element_wise11PassThroughES9_S9_LNS7_6device18GemmSpecializationE0ELi128ELi128ELi4ELi16ELi16ELi2ELi4ELi2ENS_8SequenceIJLi4ELi64ELi1EEEENSC_IJLi1ELi0ELi2EEEESE_Li2ELi2ELi2ELb0ELb1ESD_SE_SE_Li2ELi2ELi2ELb0ELb1ENSC_IJLi0ELi2ELi4ELi5ELi6ELi1ELi3ELi7EEEELi7ELi1ELi1ELNS_13LoopSchedulerE0ELNS_15PipelineVersionE0EEELb1EEEvNT_8ArgumentE.uses_vcc, 0
	.set _ZN2ck23kernel_gemm_xdlops_v2r3INS_43GridwiseGemm_k0mk1_k0nk1_mn_xdlops_v2r3_extILi256EdddLNS_25InMemoryDataOperationEnumE0ENS_13tensor_layout4gemm8RowMajorENS4_11ColumnMajorES5_NS_16tensor_operation12element_wise11PassThroughES9_S9_LNS7_6device18GemmSpecializationE0ELi128ELi128ELi4ELi16ELi16ELi2ELi4ELi2ENS_8SequenceIJLi4ELi64ELi1EEEENSC_IJLi1ELi0ELi2EEEESE_Li2ELi2ELi2ELb0ELb1ESD_SE_SE_Li2ELi2ELi2ELb0ELb1ENSC_IJLi0ELi2ELi4ELi5ELi6ELi1ELi3ELi7EEEELi7ELi1ELi1ELNS_13LoopSchedulerE0ELNS_15PipelineVersionE0EEELb1EEEvNT_8ArgumentE.uses_flat_scratch, 0
	.set _ZN2ck23kernel_gemm_xdlops_v2r3INS_43GridwiseGemm_k0mk1_k0nk1_mn_xdlops_v2r3_extILi256EdddLNS_25InMemoryDataOperationEnumE0ENS_13tensor_layout4gemm8RowMajorENS4_11ColumnMajorES5_NS_16tensor_operation12element_wise11PassThroughES9_S9_LNS7_6device18GemmSpecializationE0ELi128ELi128ELi4ELi16ELi16ELi2ELi4ELi2ENS_8SequenceIJLi4ELi64ELi1EEEENSC_IJLi1ELi0ELi2EEEESE_Li2ELi2ELi2ELb0ELb1ESD_SE_SE_Li2ELi2ELi2ELb0ELb1ENSC_IJLi0ELi2ELi4ELi5ELi6ELi1ELi3ELi7EEEELi7ELi1ELi1ELNS_13LoopSchedulerE0ELNS_15PipelineVersionE0EEELb1EEEvNT_8ArgumentE.has_dyn_sized_stack, 0
	.set _ZN2ck23kernel_gemm_xdlops_v2r3INS_43GridwiseGemm_k0mk1_k0nk1_mn_xdlops_v2r3_extILi256EdddLNS_25InMemoryDataOperationEnumE0ENS_13tensor_layout4gemm8RowMajorENS4_11ColumnMajorES5_NS_16tensor_operation12element_wise11PassThroughES9_S9_LNS7_6device18GemmSpecializationE0ELi128ELi128ELi4ELi16ELi16ELi2ELi4ELi2ENS_8SequenceIJLi4ELi64ELi1EEEENSC_IJLi1ELi0ELi2EEEESE_Li2ELi2ELi2ELb0ELb1ESD_SE_SE_Li2ELi2ELi2ELb0ELb1ENSC_IJLi0ELi2ELi4ELi5ELi6ELi1ELi3ELi7EEEELi7ELi1ELi1ELNS_13LoopSchedulerE0ELNS_15PipelineVersionE0EEELb1EEEvNT_8ArgumentE.has_recursion, 0
	.set _ZN2ck23kernel_gemm_xdlops_v2r3INS_43GridwiseGemm_k0mk1_k0nk1_mn_xdlops_v2r3_extILi256EdddLNS_25InMemoryDataOperationEnumE0ENS_13tensor_layout4gemm8RowMajorENS4_11ColumnMajorES5_NS_16tensor_operation12element_wise11PassThroughES9_S9_LNS7_6device18GemmSpecializationE0ELi128ELi128ELi4ELi16ELi16ELi2ELi4ELi2ENS_8SequenceIJLi4ELi64ELi1EEEENSC_IJLi1ELi0ELi2EEEESE_Li2ELi2ELi2ELb0ELb1ESD_SE_SE_Li2ELi2ELi2ELb0ELb1ENSC_IJLi0ELi2ELi4ELi5ELi6ELi1ELi3ELi7EEEELi7ELi1ELi1ELNS_13LoopSchedulerE0ELNS_15PipelineVersionE0EEELb1EEEvNT_8ArgumentE.has_indirect_call, 0
	.section	.AMDGPU.csdata,"",@progbits
; Kernel info:
; codeLenInByte = 4
; TotalNumSgprs: 6
; NumVgprs: 0
; NumAgprs: 0
; TotalNumVgprs: 0
; ScratchSize: 0
; MemoryBound: 0
; FloatMode: 240
; IeeeMode: 1
; LDSByteSize: 0 bytes/workgroup (compile time only)
; SGPRBlocks: 0
; VGPRBlocks: 0
; NumSGPRsForWavesPerEU: 6
; NumVGPRsForWavesPerEU: 1
; AccumOffset: 4
; Occupancy: 8
; WaveLimiterHint : 0
; COMPUTE_PGM_RSRC2:SCRATCH_EN: 0
; COMPUTE_PGM_RSRC2:USER_SGPR: 2
; COMPUTE_PGM_RSRC2:TRAP_HANDLER: 0
; COMPUTE_PGM_RSRC2:TGID_X_EN: 1
; COMPUTE_PGM_RSRC2:TGID_Y_EN: 0
; COMPUTE_PGM_RSRC2:TGID_Z_EN: 0
; COMPUTE_PGM_RSRC2:TIDIG_COMP_CNT: 0
; COMPUTE_PGM_RSRC3_GFX90A:ACCUM_OFFSET: 0
; COMPUTE_PGM_RSRC3_GFX90A:TG_SPLIT: 0
	.section	.text._ZN2ck23kernel_gemm_xdlops_v2r3INS_43GridwiseGemm_k0mk1_k0nk1_mn_xdlops_v2r3_extILi256EdddLNS_25InMemoryDataOperationEnumE0ENS_13tensor_layout4gemm8RowMajorENS4_11ColumnMajorES5_NS_16tensor_operation12element_wise11PassThroughES9_S9_LNS7_6device18GemmSpecializationE0ELi128ELi128ELi4ELi16ELi16ELi2ELi4ELi2ENS_8SequenceIJLi4ELi64ELi1EEEENSC_IJLi1ELi0ELi2EEEESE_Li2ELi2ELi2ELb0ELb1ESD_SE_SE_Li2ELi2ELi2ELb0ELb1ENSC_IJLi0ELi2ELi4ELi5ELi6ELi1ELi3ELi7EEEELi7ELi1ELi1ELNS_13LoopSchedulerE0ELNS_15PipelineVersionE0EEELb0EEEvNT_8ArgumentE,"axG",@progbits,_ZN2ck23kernel_gemm_xdlops_v2r3INS_43GridwiseGemm_k0mk1_k0nk1_mn_xdlops_v2r3_extILi256EdddLNS_25InMemoryDataOperationEnumE0ENS_13tensor_layout4gemm8RowMajorENS4_11ColumnMajorES5_NS_16tensor_operation12element_wise11PassThroughES9_S9_LNS7_6device18GemmSpecializationE0ELi128ELi128ELi4ELi16ELi16ELi2ELi4ELi2ENS_8SequenceIJLi4ELi64ELi1EEEENSC_IJLi1ELi0ELi2EEEESE_Li2ELi2ELi2ELb0ELb1ESD_SE_SE_Li2ELi2ELi2ELb0ELb1ENSC_IJLi0ELi2ELi4ELi5ELi6ELi1ELi3ELi7EEEELi7ELi1ELi1ELNS_13LoopSchedulerE0ELNS_15PipelineVersionE0EEELb0EEEvNT_8ArgumentE,comdat
	.protected	_ZN2ck23kernel_gemm_xdlops_v2r3INS_43GridwiseGemm_k0mk1_k0nk1_mn_xdlops_v2r3_extILi256EdddLNS_25InMemoryDataOperationEnumE0ENS_13tensor_layout4gemm8RowMajorENS4_11ColumnMajorES5_NS_16tensor_operation12element_wise11PassThroughES9_S9_LNS7_6device18GemmSpecializationE0ELi128ELi128ELi4ELi16ELi16ELi2ELi4ELi2ENS_8SequenceIJLi4ELi64ELi1EEEENSC_IJLi1ELi0ELi2EEEESE_Li2ELi2ELi2ELb0ELb1ESD_SE_SE_Li2ELi2ELi2ELb0ELb1ENSC_IJLi0ELi2ELi4ELi5ELi6ELi1ELi3ELi7EEEELi7ELi1ELi1ELNS_13LoopSchedulerE0ELNS_15PipelineVersionE0EEELb0EEEvNT_8ArgumentE ; -- Begin function _ZN2ck23kernel_gemm_xdlops_v2r3INS_43GridwiseGemm_k0mk1_k0nk1_mn_xdlops_v2r3_extILi256EdddLNS_25InMemoryDataOperationEnumE0ENS_13tensor_layout4gemm8RowMajorENS4_11ColumnMajorES5_NS_16tensor_operation12element_wise11PassThroughES9_S9_LNS7_6device18GemmSpecializationE0ELi128ELi128ELi4ELi16ELi16ELi2ELi4ELi2ENS_8SequenceIJLi4ELi64ELi1EEEENSC_IJLi1ELi0ELi2EEEESE_Li2ELi2ELi2ELb0ELb1ESD_SE_SE_Li2ELi2ELi2ELb0ELb1ENSC_IJLi0ELi2ELi4ELi5ELi6ELi1ELi3ELi7EEEELi7ELi1ELi1ELNS_13LoopSchedulerE0ELNS_15PipelineVersionE0EEELb0EEEvNT_8ArgumentE
	.globl	_ZN2ck23kernel_gemm_xdlops_v2r3INS_43GridwiseGemm_k0mk1_k0nk1_mn_xdlops_v2r3_extILi256EdddLNS_25InMemoryDataOperationEnumE0ENS_13tensor_layout4gemm8RowMajorENS4_11ColumnMajorES5_NS_16tensor_operation12element_wise11PassThroughES9_S9_LNS7_6device18GemmSpecializationE0ELi128ELi128ELi4ELi16ELi16ELi2ELi4ELi2ENS_8SequenceIJLi4ELi64ELi1EEEENSC_IJLi1ELi0ELi2EEEESE_Li2ELi2ELi2ELb0ELb1ESD_SE_SE_Li2ELi2ELi2ELb0ELb1ENSC_IJLi0ELi2ELi4ELi5ELi6ELi1ELi3ELi7EEEELi7ELi1ELi1ELNS_13LoopSchedulerE0ELNS_15PipelineVersionE0EEELb0EEEvNT_8ArgumentE
	.p2align	8
	.type	_ZN2ck23kernel_gemm_xdlops_v2r3INS_43GridwiseGemm_k0mk1_k0nk1_mn_xdlops_v2r3_extILi256EdddLNS_25InMemoryDataOperationEnumE0ENS_13tensor_layout4gemm8RowMajorENS4_11ColumnMajorES5_NS_16tensor_operation12element_wise11PassThroughES9_S9_LNS7_6device18GemmSpecializationE0ELi128ELi128ELi4ELi16ELi16ELi2ELi4ELi2ENS_8SequenceIJLi4ELi64ELi1EEEENSC_IJLi1ELi0ELi2EEEESE_Li2ELi2ELi2ELb0ELb1ESD_SE_SE_Li2ELi2ELi2ELb0ELb1ENSC_IJLi0ELi2ELi4ELi5ELi6ELi1ELi3ELi7EEEELi7ELi1ELi1ELNS_13LoopSchedulerE0ELNS_15PipelineVersionE0EEELb0EEEvNT_8ArgumentE,@function
_ZN2ck23kernel_gemm_xdlops_v2r3INS_43GridwiseGemm_k0mk1_k0nk1_mn_xdlops_v2r3_extILi256EdddLNS_25InMemoryDataOperationEnumE0ENS_13tensor_layout4gemm8RowMajorENS4_11ColumnMajorES5_NS_16tensor_operation12element_wise11PassThroughES9_S9_LNS7_6device18GemmSpecializationE0ELi128ELi128ELi4ELi16ELi16ELi2ELi4ELi2ENS_8SequenceIJLi4ELi64ELi1EEEENSC_IJLi1ELi0ELi2EEEESE_Li2ELi2ELi2ELb0ELb1ESD_SE_SE_Li2ELi2ELi2ELb0ELb1ENSC_IJLi0ELi2ELi4ELi5ELi6ELi1ELi3ELi7EEEELi7ELi1ELi1ELNS_13LoopSchedulerE0ELNS_15PipelineVersionE0EEELb0EEEvNT_8ArgumentE: ; @_ZN2ck23kernel_gemm_xdlops_v2r3INS_43GridwiseGemm_k0mk1_k0nk1_mn_xdlops_v2r3_extILi256EdddLNS_25InMemoryDataOperationEnumE0ENS_13tensor_layout4gemm8RowMajorENS4_11ColumnMajorES5_NS_16tensor_operation12element_wise11PassThroughES9_S9_LNS7_6device18GemmSpecializationE0ELi128ELi128ELi4ELi16ELi16ELi2ELi4ELi2ENS_8SequenceIJLi4ELi64ELi1EEEENSC_IJLi1ELi0ELi2EEEESE_Li2ELi2ELi2ELb0ELb1ESD_SE_SE_Li2ELi2ELi2ELb0ELb1ENSC_IJLi0ELi2ELi4ELi5ELi6ELi1ELi3ELi7EEEELi7ELi1ELi1ELNS_13LoopSchedulerE0ELNS_15PipelineVersionE0EEELb0EEEvNT_8ArgumentE
; %bb.0:
	s_endpgm
	.section	.rodata,"a",@progbits
	.p2align	6, 0x0
	.amdhsa_kernel _ZN2ck23kernel_gemm_xdlops_v2r3INS_43GridwiseGemm_k0mk1_k0nk1_mn_xdlops_v2r3_extILi256EdddLNS_25InMemoryDataOperationEnumE0ENS_13tensor_layout4gemm8RowMajorENS4_11ColumnMajorES5_NS_16tensor_operation12element_wise11PassThroughES9_S9_LNS7_6device18GemmSpecializationE0ELi128ELi128ELi4ELi16ELi16ELi2ELi4ELi2ENS_8SequenceIJLi4ELi64ELi1EEEENSC_IJLi1ELi0ELi2EEEESE_Li2ELi2ELi2ELb0ELb1ESD_SE_SE_Li2ELi2ELi2ELb0ELb1ENSC_IJLi0ELi2ELi4ELi5ELi6ELi1ELi3ELi7EEEELi7ELi1ELi1ELNS_13LoopSchedulerE0ELNS_15PipelineVersionE0EEELb0EEEvNT_8ArgumentE
		.amdhsa_group_segment_fixed_size 0
		.amdhsa_private_segment_fixed_size 0
		.amdhsa_kernarg_size 80
		.amdhsa_user_sgpr_count 2
		.amdhsa_user_sgpr_dispatch_ptr 0
		.amdhsa_user_sgpr_queue_ptr 0
		.amdhsa_user_sgpr_kernarg_segment_ptr 1
		.amdhsa_user_sgpr_dispatch_id 0
		.amdhsa_user_sgpr_kernarg_preload_length 0
		.amdhsa_user_sgpr_kernarg_preload_offset 0
		.amdhsa_user_sgpr_private_segment_size 0
		.amdhsa_uses_dynamic_stack 0
		.amdhsa_enable_private_segment 0
		.amdhsa_system_sgpr_workgroup_id_x 1
		.amdhsa_system_sgpr_workgroup_id_y 0
		.amdhsa_system_sgpr_workgroup_id_z 0
		.amdhsa_system_sgpr_workgroup_info 0
		.amdhsa_system_vgpr_workitem_id 0
		.amdhsa_next_free_vgpr 1
		.amdhsa_next_free_sgpr 0
		.amdhsa_accum_offset 4
		.amdhsa_reserve_vcc 0
		.amdhsa_float_round_mode_32 0
		.amdhsa_float_round_mode_16_64 0
		.amdhsa_float_denorm_mode_32 3
		.amdhsa_float_denorm_mode_16_64 3
		.amdhsa_dx10_clamp 1
		.amdhsa_ieee_mode 1
		.amdhsa_fp16_overflow 0
		.amdhsa_tg_split 0
		.amdhsa_exception_fp_ieee_invalid_op 0
		.amdhsa_exception_fp_denorm_src 0
		.amdhsa_exception_fp_ieee_div_zero 0
		.amdhsa_exception_fp_ieee_overflow 0
		.amdhsa_exception_fp_ieee_underflow 0
		.amdhsa_exception_fp_ieee_inexact 0
		.amdhsa_exception_int_div_zero 0
	.end_amdhsa_kernel
	.section	.text._ZN2ck23kernel_gemm_xdlops_v2r3INS_43GridwiseGemm_k0mk1_k0nk1_mn_xdlops_v2r3_extILi256EdddLNS_25InMemoryDataOperationEnumE0ENS_13tensor_layout4gemm8RowMajorENS4_11ColumnMajorES5_NS_16tensor_operation12element_wise11PassThroughES9_S9_LNS7_6device18GemmSpecializationE0ELi128ELi128ELi4ELi16ELi16ELi2ELi4ELi2ENS_8SequenceIJLi4ELi64ELi1EEEENSC_IJLi1ELi0ELi2EEEESE_Li2ELi2ELi2ELb0ELb1ESD_SE_SE_Li2ELi2ELi2ELb0ELb1ENSC_IJLi0ELi2ELi4ELi5ELi6ELi1ELi3ELi7EEEELi7ELi1ELi1ELNS_13LoopSchedulerE0ELNS_15PipelineVersionE0EEELb0EEEvNT_8ArgumentE,"axG",@progbits,_ZN2ck23kernel_gemm_xdlops_v2r3INS_43GridwiseGemm_k0mk1_k0nk1_mn_xdlops_v2r3_extILi256EdddLNS_25InMemoryDataOperationEnumE0ENS_13tensor_layout4gemm8RowMajorENS4_11ColumnMajorES5_NS_16tensor_operation12element_wise11PassThroughES9_S9_LNS7_6device18GemmSpecializationE0ELi128ELi128ELi4ELi16ELi16ELi2ELi4ELi2ENS_8SequenceIJLi4ELi64ELi1EEEENSC_IJLi1ELi0ELi2EEEESE_Li2ELi2ELi2ELb0ELb1ESD_SE_SE_Li2ELi2ELi2ELb0ELb1ENSC_IJLi0ELi2ELi4ELi5ELi6ELi1ELi3ELi7EEEELi7ELi1ELi1ELNS_13LoopSchedulerE0ELNS_15PipelineVersionE0EEELb0EEEvNT_8ArgumentE,comdat
.Lfunc_end4:
	.size	_ZN2ck23kernel_gemm_xdlops_v2r3INS_43GridwiseGemm_k0mk1_k0nk1_mn_xdlops_v2r3_extILi256EdddLNS_25InMemoryDataOperationEnumE0ENS_13tensor_layout4gemm8RowMajorENS4_11ColumnMajorES5_NS_16tensor_operation12element_wise11PassThroughES9_S9_LNS7_6device18GemmSpecializationE0ELi128ELi128ELi4ELi16ELi16ELi2ELi4ELi2ENS_8SequenceIJLi4ELi64ELi1EEEENSC_IJLi1ELi0ELi2EEEESE_Li2ELi2ELi2ELb0ELb1ESD_SE_SE_Li2ELi2ELi2ELb0ELb1ENSC_IJLi0ELi2ELi4ELi5ELi6ELi1ELi3ELi7EEEELi7ELi1ELi1ELNS_13LoopSchedulerE0ELNS_15PipelineVersionE0EEELb0EEEvNT_8ArgumentE, .Lfunc_end4-_ZN2ck23kernel_gemm_xdlops_v2r3INS_43GridwiseGemm_k0mk1_k0nk1_mn_xdlops_v2r3_extILi256EdddLNS_25InMemoryDataOperationEnumE0ENS_13tensor_layout4gemm8RowMajorENS4_11ColumnMajorES5_NS_16tensor_operation12element_wise11PassThroughES9_S9_LNS7_6device18GemmSpecializationE0ELi128ELi128ELi4ELi16ELi16ELi2ELi4ELi2ENS_8SequenceIJLi4ELi64ELi1EEEENSC_IJLi1ELi0ELi2EEEESE_Li2ELi2ELi2ELb0ELb1ESD_SE_SE_Li2ELi2ELi2ELb0ELb1ENSC_IJLi0ELi2ELi4ELi5ELi6ELi1ELi3ELi7EEEELi7ELi1ELi1ELNS_13LoopSchedulerE0ELNS_15PipelineVersionE0EEELb0EEEvNT_8ArgumentE
                                        ; -- End function
	.set _ZN2ck23kernel_gemm_xdlops_v2r3INS_43GridwiseGemm_k0mk1_k0nk1_mn_xdlops_v2r3_extILi256EdddLNS_25InMemoryDataOperationEnumE0ENS_13tensor_layout4gemm8RowMajorENS4_11ColumnMajorES5_NS_16tensor_operation12element_wise11PassThroughES9_S9_LNS7_6device18GemmSpecializationE0ELi128ELi128ELi4ELi16ELi16ELi2ELi4ELi2ENS_8SequenceIJLi4ELi64ELi1EEEENSC_IJLi1ELi0ELi2EEEESE_Li2ELi2ELi2ELb0ELb1ESD_SE_SE_Li2ELi2ELi2ELb0ELb1ENSC_IJLi0ELi2ELi4ELi5ELi6ELi1ELi3ELi7EEEELi7ELi1ELi1ELNS_13LoopSchedulerE0ELNS_15PipelineVersionE0EEELb0EEEvNT_8ArgumentE.num_vgpr, 0
	.set _ZN2ck23kernel_gemm_xdlops_v2r3INS_43GridwiseGemm_k0mk1_k0nk1_mn_xdlops_v2r3_extILi256EdddLNS_25InMemoryDataOperationEnumE0ENS_13tensor_layout4gemm8RowMajorENS4_11ColumnMajorES5_NS_16tensor_operation12element_wise11PassThroughES9_S9_LNS7_6device18GemmSpecializationE0ELi128ELi128ELi4ELi16ELi16ELi2ELi4ELi2ENS_8SequenceIJLi4ELi64ELi1EEEENSC_IJLi1ELi0ELi2EEEESE_Li2ELi2ELi2ELb0ELb1ESD_SE_SE_Li2ELi2ELi2ELb0ELb1ENSC_IJLi0ELi2ELi4ELi5ELi6ELi1ELi3ELi7EEEELi7ELi1ELi1ELNS_13LoopSchedulerE0ELNS_15PipelineVersionE0EEELb0EEEvNT_8ArgumentE.num_agpr, 0
	.set _ZN2ck23kernel_gemm_xdlops_v2r3INS_43GridwiseGemm_k0mk1_k0nk1_mn_xdlops_v2r3_extILi256EdddLNS_25InMemoryDataOperationEnumE0ENS_13tensor_layout4gemm8RowMajorENS4_11ColumnMajorES5_NS_16tensor_operation12element_wise11PassThroughES9_S9_LNS7_6device18GemmSpecializationE0ELi128ELi128ELi4ELi16ELi16ELi2ELi4ELi2ENS_8SequenceIJLi4ELi64ELi1EEEENSC_IJLi1ELi0ELi2EEEESE_Li2ELi2ELi2ELb0ELb1ESD_SE_SE_Li2ELi2ELi2ELb0ELb1ENSC_IJLi0ELi2ELi4ELi5ELi6ELi1ELi3ELi7EEEELi7ELi1ELi1ELNS_13LoopSchedulerE0ELNS_15PipelineVersionE0EEELb0EEEvNT_8ArgumentE.numbered_sgpr, 0
	.set _ZN2ck23kernel_gemm_xdlops_v2r3INS_43GridwiseGemm_k0mk1_k0nk1_mn_xdlops_v2r3_extILi256EdddLNS_25InMemoryDataOperationEnumE0ENS_13tensor_layout4gemm8RowMajorENS4_11ColumnMajorES5_NS_16tensor_operation12element_wise11PassThroughES9_S9_LNS7_6device18GemmSpecializationE0ELi128ELi128ELi4ELi16ELi16ELi2ELi4ELi2ENS_8SequenceIJLi4ELi64ELi1EEEENSC_IJLi1ELi0ELi2EEEESE_Li2ELi2ELi2ELb0ELb1ESD_SE_SE_Li2ELi2ELi2ELb0ELb1ENSC_IJLi0ELi2ELi4ELi5ELi6ELi1ELi3ELi7EEEELi7ELi1ELi1ELNS_13LoopSchedulerE0ELNS_15PipelineVersionE0EEELb0EEEvNT_8ArgumentE.num_named_barrier, 0
	.set _ZN2ck23kernel_gemm_xdlops_v2r3INS_43GridwiseGemm_k0mk1_k0nk1_mn_xdlops_v2r3_extILi256EdddLNS_25InMemoryDataOperationEnumE0ENS_13tensor_layout4gemm8RowMajorENS4_11ColumnMajorES5_NS_16tensor_operation12element_wise11PassThroughES9_S9_LNS7_6device18GemmSpecializationE0ELi128ELi128ELi4ELi16ELi16ELi2ELi4ELi2ENS_8SequenceIJLi4ELi64ELi1EEEENSC_IJLi1ELi0ELi2EEEESE_Li2ELi2ELi2ELb0ELb1ESD_SE_SE_Li2ELi2ELi2ELb0ELb1ENSC_IJLi0ELi2ELi4ELi5ELi6ELi1ELi3ELi7EEEELi7ELi1ELi1ELNS_13LoopSchedulerE0ELNS_15PipelineVersionE0EEELb0EEEvNT_8ArgumentE.private_seg_size, 0
	.set _ZN2ck23kernel_gemm_xdlops_v2r3INS_43GridwiseGemm_k0mk1_k0nk1_mn_xdlops_v2r3_extILi256EdddLNS_25InMemoryDataOperationEnumE0ENS_13tensor_layout4gemm8RowMajorENS4_11ColumnMajorES5_NS_16tensor_operation12element_wise11PassThroughES9_S9_LNS7_6device18GemmSpecializationE0ELi128ELi128ELi4ELi16ELi16ELi2ELi4ELi2ENS_8SequenceIJLi4ELi64ELi1EEEENSC_IJLi1ELi0ELi2EEEESE_Li2ELi2ELi2ELb0ELb1ESD_SE_SE_Li2ELi2ELi2ELb0ELb1ENSC_IJLi0ELi2ELi4ELi5ELi6ELi1ELi3ELi7EEEELi7ELi1ELi1ELNS_13LoopSchedulerE0ELNS_15PipelineVersionE0EEELb0EEEvNT_8ArgumentE.uses_vcc, 0
	.set _ZN2ck23kernel_gemm_xdlops_v2r3INS_43GridwiseGemm_k0mk1_k0nk1_mn_xdlops_v2r3_extILi256EdddLNS_25InMemoryDataOperationEnumE0ENS_13tensor_layout4gemm8RowMajorENS4_11ColumnMajorES5_NS_16tensor_operation12element_wise11PassThroughES9_S9_LNS7_6device18GemmSpecializationE0ELi128ELi128ELi4ELi16ELi16ELi2ELi4ELi2ENS_8SequenceIJLi4ELi64ELi1EEEENSC_IJLi1ELi0ELi2EEEESE_Li2ELi2ELi2ELb0ELb1ESD_SE_SE_Li2ELi2ELi2ELb0ELb1ENSC_IJLi0ELi2ELi4ELi5ELi6ELi1ELi3ELi7EEEELi7ELi1ELi1ELNS_13LoopSchedulerE0ELNS_15PipelineVersionE0EEELb0EEEvNT_8ArgumentE.uses_flat_scratch, 0
	.set _ZN2ck23kernel_gemm_xdlops_v2r3INS_43GridwiseGemm_k0mk1_k0nk1_mn_xdlops_v2r3_extILi256EdddLNS_25InMemoryDataOperationEnumE0ENS_13tensor_layout4gemm8RowMajorENS4_11ColumnMajorES5_NS_16tensor_operation12element_wise11PassThroughES9_S9_LNS7_6device18GemmSpecializationE0ELi128ELi128ELi4ELi16ELi16ELi2ELi4ELi2ENS_8SequenceIJLi4ELi64ELi1EEEENSC_IJLi1ELi0ELi2EEEESE_Li2ELi2ELi2ELb0ELb1ESD_SE_SE_Li2ELi2ELi2ELb0ELb1ENSC_IJLi0ELi2ELi4ELi5ELi6ELi1ELi3ELi7EEEELi7ELi1ELi1ELNS_13LoopSchedulerE0ELNS_15PipelineVersionE0EEELb0EEEvNT_8ArgumentE.has_dyn_sized_stack, 0
	.set _ZN2ck23kernel_gemm_xdlops_v2r3INS_43GridwiseGemm_k0mk1_k0nk1_mn_xdlops_v2r3_extILi256EdddLNS_25InMemoryDataOperationEnumE0ENS_13tensor_layout4gemm8RowMajorENS4_11ColumnMajorES5_NS_16tensor_operation12element_wise11PassThroughES9_S9_LNS7_6device18GemmSpecializationE0ELi128ELi128ELi4ELi16ELi16ELi2ELi4ELi2ENS_8SequenceIJLi4ELi64ELi1EEEENSC_IJLi1ELi0ELi2EEEESE_Li2ELi2ELi2ELb0ELb1ESD_SE_SE_Li2ELi2ELi2ELb0ELb1ENSC_IJLi0ELi2ELi4ELi5ELi6ELi1ELi3ELi7EEEELi7ELi1ELi1ELNS_13LoopSchedulerE0ELNS_15PipelineVersionE0EEELb0EEEvNT_8ArgumentE.has_recursion, 0
	.set _ZN2ck23kernel_gemm_xdlops_v2r3INS_43GridwiseGemm_k0mk1_k0nk1_mn_xdlops_v2r3_extILi256EdddLNS_25InMemoryDataOperationEnumE0ENS_13tensor_layout4gemm8RowMajorENS4_11ColumnMajorES5_NS_16tensor_operation12element_wise11PassThroughES9_S9_LNS7_6device18GemmSpecializationE0ELi128ELi128ELi4ELi16ELi16ELi2ELi4ELi2ENS_8SequenceIJLi4ELi64ELi1EEEENSC_IJLi1ELi0ELi2EEEESE_Li2ELi2ELi2ELb0ELb1ESD_SE_SE_Li2ELi2ELi2ELb0ELb1ENSC_IJLi0ELi2ELi4ELi5ELi6ELi1ELi3ELi7EEEELi7ELi1ELi1ELNS_13LoopSchedulerE0ELNS_15PipelineVersionE0EEELb0EEEvNT_8ArgumentE.has_indirect_call, 0
	.section	.AMDGPU.csdata,"",@progbits
; Kernel info:
; codeLenInByte = 4
; TotalNumSgprs: 6
; NumVgprs: 0
; NumAgprs: 0
; TotalNumVgprs: 0
; ScratchSize: 0
; MemoryBound: 0
; FloatMode: 240
; IeeeMode: 1
; LDSByteSize: 0 bytes/workgroup (compile time only)
; SGPRBlocks: 0
; VGPRBlocks: 0
; NumSGPRsForWavesPerEU: 6
; NumVGPRsForWavesPerEU: 1
; AccumOffset: 4
; Occupancy: 8
; WaveLimiterHint : 0
; COMPUTE_PGM_RSRC2:SCRATCH_EN: 0
; COMPUTE_PGM_RSRC2:USER_SGPR: 2
; COMPUTE_PGM_RSRC2:TRAP_HANDLER: 0
; COMPUTE_PGM_RSRC2:TGID_X_EN: 1
; COMPUTE_PGM_RSRC2:TGID_Y_EN: 0
; COMPUTE_PGM_RSRC2:TGID_Z_EN: 0
; COMPUTE_PGM_RSRC2:TIDIG_COMP_CNT: 0
; COMPUTE_PGM_RSRC3_GFX90A:ACCUM_OFFSET: 0
; COMPUTE_PGM_RSRC3_GFX90A:TG_SPLIT: 0
	.section	.text._ZN2ck17naive_gemm_kernelINS_13tensor_layout4gemm8RowMajorENS2_11ColumnMajorES3_ddddNS_16tensor_operation12element_wise11PassThroughES7_S7_ddEEvPKT2_PKT3_PT4_iiiT6_T7_T8_,"axG",@progbits,_ZN2ck17naive_gemm_kernelINS_13tensor_layout4gemm8RowMajorENS2_11ColumnMajorES3_ddddNS_16tensor_operation12element_wise11PassThroughES7_S7_ddEEvPKT2_PKT3_PT4_iiiT6_T7_T8_,comdat
	.protected	_ZN2ck17naive_gemm_kernelINS_13tensor_layout4gemm8RowMajorENS2_11ColumnMajorES3_ddddNS_16tensor_operation12element_wise11PassThroughES7_S7_ddEEvPKT2_PKT3_PT4_iiiT6_T7_T8_ ; -- Begin function _ZN2ck17naive_gemm_kernelINS_13tensor_layout4gemm8RowMajorENS2_11ColumnMajorES3_ddddNS_16tensor_operation12element_wise11PassThroughES7_S7_ddEEvPKT2_PKT3_PT4_iiiT6_T7_T8_
	.globl	_ZN2ck17naive_gemm_kernelINS_13tensor_layout4gemm8RowMajorENS2_11ColumnMajorES3_ddddNS_16tensor_operation12element_wise11PassThroughES7_S7_ddEEvPKT2_PKT3_PT4_iiiT6_T7_T8_
	.p2align	8
	.type	_ZN2ck17naive_gemm_kernelINS_13tensor_layout4gemm8RowMajorENS2_11ColumnMajorES3_ddddNS_16tensor_operation12element_wise11PassThroughES7_S7_ddEEvPKT2_PKT3_PT4_iiiT6_T7_T8_,@function
_ZN2ck17naive_gemm_kernelINS_13tensor_layout4gemm8RowMajorENS2_11ColumnMajorES3_ddddNS_16tensor_operation12element_wise11PassThroughES7_S7_ddEEvPKT2_PKT3_PT4_iiiT6_T7_T8_: ; @_ZN2ck17naive_gemm_kernelINS_13tensor_layout4gemm8RowMajorENS2_11ColumnMajorES3_ddddNS_16tensor_operation12element_wise11PassThroughES7_S7_ddEEvPKT2_PKT3_PT4_iiiT6_T7_T8_
; %bb.0:
	s_load_dword s8, s[0:1], 0x34
	s_load_dwordx4 s[4:7], s[0:1], 0x18
	v_and_b32_e32 v1, 0x3ff, v0
	v_bfe_u32 v0, v0, 10, 10
	s_waitcnt lgkmcnt(0)
	s_lshr_b32 s7, s8, 16
	s_and_b32 s8, s8, 0xffff
	s_mul_i32 s2, s2, s8
	s_mul_i32 s3, s3, s7
	v_add_u32_e32 v1, s2, v1
	v_add_u32_e32 v0, s3, v0
	v_cmp_gt_i32_e32 vcc, s4, v1
	v_cmp_gt_i32_e64 s[2:3], s5, v0
	s_and_b64 s[2:3], vcc, s[2:3]
	s_and_saveexec_b64 s[8:9], s[2:3]
	s_cbranch_execz .LBB5_6
; %bb.1:
	s_load_dwordx2 s[2:3], s[0:1], 0x10
	s_cmp_lt_i32 s6, 1
	s_cbranch_scc1 .LBB5_4
; %bb.2:
	s_load_dwordx4 s[8:11], s[0:1], 0x0
	v_mul_lo_u32 v2, v1, s6
	v_mul_lo_u32 v4, v0, s6
	v_ashrrev_i32_e32 v5, 31, v4
	v_ashrrev_i32_e32 v3, 31, v2
	s_waitcnt lgkmcnt(0)
	v_lshl_add_u64 v[4:5], v[4:5], 3, s[10:11]
	v_lshl_add_u64 v[6:7], v[2:3], 3, s[8:9]
	v_mov_b64_e32 v[2:3], 0
.LBB5_3:                                ; =>This Inner Loop Header: Depth=1
	global_load_dwordx2 v[8:9], v[6:7], off
	global_load_dwordx2 v[10:11], v[4:5], off
	s_add_i32 s6, s6, -1
	v_lshl_add_u64 v[4:5], v[4:5], 0, 8
	v_lshl_add_u64 v[6:7], v[6:7], 0, 8
	s_cmp_eq_u32 s6, 0
	s_waitcnt vmcnt(0)
	v_fmac_f64_e32 v[2:3], v[8:9], v[10:11]
	s_cbranch_scc0 .LBB5_3
	s_branch .LBB5_5
.LBB5_4:
	v_mov_b64_e32 v[2:3], 0
.LBB5_5:
	v_mad_u64_u32 v[0:1], s[0:1], v1, s5, v[0:1]
	v_ashrrev_i32_e32 v1, 31, v0
	s_waitcnt lgkmcnt(0)
	v_lshl_add_u64 v[0:1], v[0:1], 3, s[2:3]
	global_store_dwordx2 v[0:1], v[2:3], off
.LBB5_6:
	s_endpgm
	.section	.rodata,"a",@progbits
	.p2align	6, 0x0
	.amdhsa_kernel _ZN2ck17naive_gemm_kernelINS_13tensor_layout4gemm8RowMajorENS2_11ColumnMajorES3_ddddNS_16tensor_operation12element_wise11PassThroughES7_S7_ddEEvPKT2_PKT3_PT4_iiiT6_T7_T8_
		.amdhsa_group_segment_fixed_size 0
		.amdhsa_private_segment_fixed_size 0
		.amdhsa_kernarg_size 296
		.amdhsa_user_sgpr_count 2
		.amdhsa_user_sgpr_dispatch_ptr 0
		.amdhsa_user_sgpr_queue_ptr 0
		.amdhsa_user_sgpr_kernarg_segment_ptr 1
		.amdhsa_user_sgpr_dispatch_id 0
		.amdhsa_user_sgpr_kernarg_preload_length 0
		.amdhsa_user_sgpr_kernarg_preload_offset 0
		.amdhsa_user_sgpr_private_segment_size 0
		.amdhsa_uses_dynamic_stack 0
		.amdhsa_enable_private_segment 0
		.amdhsa_system_sgpr_workgroup_id_x 1
		.amdhsa_system_sgpr_workgroup_id_y 1
		.amdhsa_system_sgpr_workgroup_id_z 0
		.amdhsa_system_sgpr_workgroup_info 0
		.amdhsa_system_vgpr_workitem_id 1
		.amdhsa_next_free_vgpr 12
		.amdhsa_next_free_sgpr 12
		.amdhsa_accum_offset 12
		.amdhsa_reserve_vcc 1
		.amdhsa_float_round_mode_32 0
		.amdhsa_float_round_mode_16_64 0
		.amdhsa_float_denorm_mode_32 3
		.amdhsa_float_denorm_mode_16_64 3
		.amdhsa_dx10_clamp 1
		.amdhsa_ieee_mode 1
		.amdhsa_fp16_overflow 0
		.amdhsa_tg_split 0
		.amdhsa_exception_fp_ieee_invalid_op 0
		.amdhsa_exception_fp_denorm_src 0
		.amdhsa_exception_fp_ieee_div_zero 0
		.amdhsa_exception_fp_ieee_overflow 0
		.amdhsa_exception_fp_ieee_underflow 0
		.amdhsa_exception_fp_ieee_inexact 0
		.amdhsa_exception_int_div_zero 0
	.end_amdhsa_kernel
	.section	.text._ZN2ck17naive_gemm_kernelINS_13tensor_layout4gemm8RowMajorENS2_11ColumnMajorES3_ddddNS_16tensor_operation12element_wise11PassThroughES7_S7_ddEEvPKT2_PKT3_PT4_iiiT6_T7_T8_,"axG",@progbits,_ZN2ck17naive_gemm_kernelINS_13tensor_layout4gemm8RowMajorENS2_11ColumnMajorES3_ddddNS_16tensor_operation12element_wise11PassThroughES7_S7_ddEEvPKT2_PKT3_PT4_iiiT6_T7_T8_,comdat
.Lfunc_end5:
	.size	_ZN2ck17naive_gemm_kernelINS_13tensor_layout4gemm8RowMajorENS2_11ColumnMajorES3_ddddNS_16tensor_operation12element_wise11PassThroughES7_S7_ddEEvPKT2_PKT3_PT4_iiiT6_T7_T8_, .Lfunc_end5-_ZN2ck17naive_gemm_kernelINS_13tensor_layout4gemm8RowMajorENS2_11ColumnMajorES3_ddddNS_16tensor_operation12element_wise11PassThroughES7_S7_ddEEvPKT2_PKT3_PT4_iiiT6_T7_T8_
                                        ; -- End function
	.set _ZN2ck17naive_gemm_kernelINS_13tensor_layout4gemm8RowMajorENS2_11ColumnMajorES3_ddddNS_16tensor_operation12element_wise11PassThroughES7_S7_ddEEvPKT2_PKT3_PT4_iiiT6_T7_T8_.num_vgpr, 12
	.set _ZN2ck17naive_gemm_kernelINS_13tensor_layout4gemm8RowMajorENS2_11ColumnMajorES3_ddddNS_16tensor_operation12element_wise11PassThroughES7_S7_ddEEvPKT2_PKT3_PT4_iiiT6_T7_T8_.num_agpr, 0
	.set _ZN2ck17naive_gemm_kernelINS_13tensor_layout4gemm8RowMajorENS2_11ColumnMajorES3_ddddNS_16tensor_operation12element_wise11PassThroughES7_S7_ddEEvPKT2_PKT3_PT4_iiiT6_T7_T8_.numbered_sgpr, 12
	.set _ZN2ck17naive_gemm_kernelINS_13tensor_layout4gemm8RowMajorENS2_11ColumnMajorES3_ddddNS_16tensor_operation12element_wise11PassThroughES7_S7_ddEEvPKT2_PKT3_PT4_iiiT6_T7_T8_.num_named_barrier, 0
	.set _ZN2ck17naive_gemm_kernelINS_13tensor_layout4gemm8RowMajorENS2_11ColumnMajorES3_ddddNS_16tensor_operation12element_wise11PassThroughES7_S7_ddEEvPKT2_PKT3_PT4_iiiT6_T7_T8_.private_seg_size, 0
	.set _ZN2ck17naive_gemm_kernelINS_13tensor_layout4gemm8RowMajorENS2_11ColumnMajorES3_ddddNS_16tensor_operation12element_wise11PassThroughES7_S7_ddEEvPKT2_PKT3_PT4_iiiT6_T7_T8_.uses_vcc, 1
	.set _ZN2ck17naive_gemm_kernelINS_13tensor_layout4gemm8RowMajorENS2_11ColumnMajorES3_ddddNS_16tensor_operation12element_wise11PassThroughES7_S7_ddEEvPKT2_PKT3_PT4_iiiT6_T7_T8_.uses_flat_scratch, 0
	.set _ZN2ck17naive_gemm_kernelINS_13tensor_layout4gemm8RowMajorENS2_11ColumnMajorES3_ddddNS_16tensor_operation12element_wise11PassThroughES7_S7_ddEEvPKT2_PKT3_PT4_iiiT6_T7_T8_.has_dyn_sized_stack, 0
	.set _ZN2ck17naive_gemm_kernelINS_13tensor_layout4gemm8RowMajorENS2_11ColumnMajorES3_ddddNS_16tensor_operation12element_wise11PassThroughES7_S7_ddEEvPKT2_PKT3_PT4_iiiT6_T7_T8_.has_recursion, 0
	.set _ZN2ck17naive_gemm_kernelINS_13tensor_layout4gemm8RowMajorENS2_11ColumnMajorES3_ddddNS_16tensor_operation12element_wise11PassThroughES7_S7_ddEEvPKT2_PKT3_PT4_iiiT6_T7_T8_.has_indirect_call, 0
	.section	.AMDGPU.csdata,"",@progbits
; Kernel info:
; codeLenInByte = 256
; TotalNumSgprs: 18
; NumVgprs: 12
; NumAgprs: 0
; TotalNumVgprs: 12
; ScratchSize: 0
; MemoryBound: 0
; FloatMode: 240
; IeeeMode: 1
; LDSByteSize: 0 bytes/workgroup (compile time only)
; SGPRBlocks: 2
; VGPRBlocks: 1
; NumSGPRsForWavesPerEU: 18
; NumVGPRsForWavesPerEU: 12
; AccumOffset: 12
; Occupancy: 8
; WaveLimiterHint : 0
; COMPUTE_PGM_RSRC2:SCRATCH_EN: 0
; COMPUTE_PGM_RSRC2:USER_SGPR: 2
; COMPUTE_PGM_RSRC2:TRAP_HANDLER: 0
; COMPUTE_PGM_RSRC2:TGID_X_EN: 1
; COMPUTE_PGM_RSRC2:TGID_Y_EN: 1
; COMPUTE_PGM_RSRC2:TGID_Z_EN: 0
; COMPUTE_PGM_RSRC2:TIDIG_COMP_CNT: 1
; COMPUTE_PGM_RSRC3_GFX90A:ACCUM_OFFSET: 2
; COMPUTE_PGM_RSRC3_GFX90A:TG_SPLIT: 0
	.section	.AMDGPU.gpr_maximums,"",@progbits
	.set amdgpu.max_num_vgpr, 0
	.set amdgpu.max_num_agpr, 0
	.set amdgpu.max_num_sgpr, 0
	.section	.AMDGPU.csdata,"",@progbits
	.protected	_ZN2ck51BlockwiseGemmXdlops_k0mk1_k0nk1_m0n0m1n1m2m3m4n2_v1ILi256EdddKNS_16TensorDescriptorINS_5TupleIJNS_5EmbedINS2_IJNS_17integral_constantIiLi4EEENS4_IiLi128EEENS4_IiLi2EEEEEENS2_IJNS4_IiLi258EEES7_NS4_IiLi1EEEEEELb0EEEEEENS2_IJNS_8SequenceIJLi0EEEEEEENS2_IJNSE_IJLi1ELi2ELi3EEEEEEESH_NS4_IlLl1030EEEEESL_Li16ELi16ELi4ELi4ELi2EddE6MWavesE ; @_ZN2ck51BlockwiseGemmXdlops_k0mk1_k0nk1_m0n0m1n1m2m3m4n2_v1ILi256EdddKNS_16TensorDescriptorINS_5TupleIJNS_5EmbedINS2_IJNS_17integral_constantIiLi4EEENS4_IiLi128EEENS4_IiLi2EEEEEENS2_IJNS4_IiLi258EEES7_NS4_IiLi1EEEEEELb0EEEEEENS2_IJNS_8SequenceIJLi0EEEEEEENS2_IJNSE_IJLi1ELi2ELi3EEEEEEESH_NS4_IlLl1030EEEEESL_Li16ELi16ELi4ELi4ELi2EddE6MWavesE
	.type	_ZN2ck51BlockwiseGemmXdlops_k0mk1_k0nk1_m0n0m1n1m2m3m4n2_v1ILi256EdddKNS_16TensorDescriptorINS_5TupleIJNS_5EmbedINS2_IJNS_17integral_constantIiLi4EEENS4_IiLi128EEENS4_IiLi2EEEEEENS2_IJNS4_IiLi258EEES7_NS4_IiLi1EEEEEELb0EEEEEENS2_IJNS_8SequenceIJLi0EEEEEEENS2_IJNSE_IJLi1ELi2ELi3EEEEEEESH_NS4_IlLl1030EEEEESL_Li16ELi16ELi4ELi4ELi2EddE6MWavesE,@object
	.section	.rodata._ZN2ck51BlockwiseGemmXdlops_k0mk1_k0nk1_m0n0m1n1m2m3m4n2_v1ILi256EdddKNS_16TensorDescriptorINS_5TupleIJNS_5EmbedINS2_IJNS_17integral_constantIiLi4EEENS4_IiLi128EEENS4_IiLi2EEEEEENS2_IJNS4_IiLi258EEES7_NS4_IiLi1EEEEEELb0EEEEEENS2_IJNS_8SequenceIJLi0EEEEEEENS2_IJNSE_IJLi1ELi2ELi3EEEEEEESH_NS4_IlLl1030EEEEESL_Li16ELi16ELi4ELi4ELi2EddE6MWavesE,"aG",@progbits,_ZN2ck51BlockwiseGemmXdlops_k0mk1_k0nk1_m0n0m1n1m2m3m4n2_v1ILi256EdddKNS_16TensorDescriptorINS_5TupleIJNS_5EmbedINS2_IJNS_17integral_constantIiLi4EEENS4_IiLi128EEENS4_IiLi2EEEEEENS2_IJNS4_IiLi258EEES7_NS4_IiLi1EEEEEELb0EEEEEENS2_IJNS_8SequenceIJLi0EEEEEEENS2_IJNSE_IJLi1ELi2ELi3EEEEEEESH_NS4_IlLl1030EEEEESL_Li16ELi16ELi4ELi4ELi2EddE6MWavesE,comdat
	.weak	_ZN2ck51BlockwiseGemmXdlops_k0mk1_k0nk1_m0n0m1n1m2m3m4n2_v1ILi256EdddKNS_16TensorDescriptorINS_5TupleIJNS_5EmbedINS2_IJNS_17integral_constantIiLi4EEENS4_IiLi128EEENS4_IiLi2EEEEEENS2_IJNS4_IiLi258EEES7_NS4_IiLi1EEEEEELb0EEEEEENS2_IJNS_8SequenceIJLi0EEEEEEENS2_IJNSE_IJLi1ELi2ELi3EEEEEEESH_NS4_IlLl1030EEEEESL_Li16ELi16ELi4ELi4ELi2EddE6MWavesE
	.p2align	2, 0x0
_ZN2ck51BlockwiseGemmXdlops_k0mk1_k0nk1_m0n0m1n1m2m3m4n2_v1ILi256EdddKNS_16TensorDescriptorINS_5TupleIJNS_5EmbedINS2_IJNS_17integral_constantIiLi4EEENS4_IiLi128EEENS4_IiLi2EEEEEENS2_IJNS4_IiLi258EEES7_NS4_IiLi1EEEEEELb0EEEEEENS2_IJNS_8SequenceIJLi0EEEEEEENS2_IJNSE_IJLi1ELi2ELi3EEEEEEESH_NS4_IlLl1030EEEEESL_Li16ELi16ELi4ELi4ELi2EddE6MWavesE:
	.long	2                               ; 0x2
	.size	_ZN2ck51BlockwiseGemmXdlops_k0mk1_k0nk1_m0n0m1n1m2m3m4n2_v1ILi256EdddKNS_16TensorDescriptorINS_5TupleIJNS_5EmbedINS2_IJNS_17integral_constantIiLi4EEENS4_IiLi128EEENS4_IiLi2EEEEEENS2_IJNS4_IiLi258EEES7_NS4_IiLi1EEEEEELb0EEEEEENS2_IJNS_8SequenceIJLi0EEEEEEENS2_IJNSE_IJLi1ELi2ELi3EEEEEEESH_NS4_IlLl1030EEEEESL_Li16ELi16ELi4ELi4ELi2EddE6MWavesE, 4

	.protected	_ZN2ck51BlockwiseGemmXdlops_k0mk1_k0nk1_m0n0m1n1m2m3m4n2_v1ILi256EdddKNS_16TensorDescriptorINS_5TupleIJNS_5EmbedINS2_IJNS_17integral_constantIiLi4EEENS4_IiLi128EEENS4_IiLi2EEEEEENS2_IJNS4_IiLi258EEES7_NS4_IiLi1EEEEEELb0EEEEEENS2_IJNS_8SequenceIJLi0EEEEEEENS2_IJNSE_IJLi1ELi2ELi3EEEEEEESH_NS4_IlLl1030EEEEESL_Li16ELi16ELi4ELi4ELi2EddE6NWavesE ; @_ZN2ck51BlockwiseGemmXdlops_k0mk1_k0nk1_m0n0m1n1m2m3m4n2_v1ILi256EdddKNS_16TensorDescriptorINS_5TupleIJNS_5EmbedINS2_IJNS_17integral_constantIiLi4EEENS4_IiLi128EEENS4_IiLi2EEEEEENS2_IJNS4_IiLi258EEES7_NS4_IiLi1EEEEEELb0EEEEEENS2_IJNS_8SequenceIJLi0EEEEEEENS2_IJNSE_IJLi1ELi2ELi3EEEEEEESH_NS4_IlLl1030EEEEESL_Li16ELi16ELi4ELi4ELi2EddE6NWavesE
	.type	_ZN2ck51BlockwiseGemmXdlops_k0mk1_k0nk1_m0n0m1n1m2m3m4n2_v1ILi256EdddKNS_16TensorDescriptorINS_5TupleIJNS_5EmbedINS2_IJNS_17integral_constantIiLi4EEENS4_IiLi128EEENS4_IiLi2EEEEEENS2_IJNS4_IiLi258EEES7_NS4_IiLi1EEEEEELb0EEEEEENS2_IJNS_8SequenceIJLi0EEEEEEENS2_IJNSE_IJLi1ELi2ELi3EEEEEEESH_NS4_IlLl1030EEEEESL_Li16ELi16ELi4ELi4ELi2EddE6NWavesE,@object
	.section	.rodata._ZN2ck51BlockwiseGemmXdlops_k0mk1_k0nk1_m0n0m1n1m2m3m4n2_v1ILi256EdddKNS_16TensorDescriptorINS_5TupleIJNS_5EmbedINS2_IJNS_17integral_constantIiLi4EEENS4_IiLi128EEENS4_IiLi2EEEEEENS2_IJNS4_IiLi258EEES7_NS4_IiLi1EEEEEELb0EEEEEENS2_IJNS_8SequenceIJLi0EEEEEEENS2_IJNSE_IJLi1ELi2ELi3EEEEEEESH_NS4_IlLl1030EEEEESL_Li16ELi16ELi4ELi4ELi2EddE6NWavesE,"aG",@progbits,_ZN2ck51BlockwiseGemmXdlops_k0mk1_k0nk1_m0n0m1n1m2m3m4n2_v1ILi256EdddKNS_16TensorDescriptorINS_5TupleIJNS_5EmbedINS2_IJNS_17integral_constantIiLi4EEENS4_IiLi128EEENS4_IiLi2EEEEEENS2_IJNS4_IiLi258EEES7_NS4_IiLi1EEEEEELb0EEEEEENS2_IJNS_8SequenceIJLi0EEEEEEENS2_IJNSE_IJLi1ELi2ELi3EEEEEEESH_NS4_IlLl1030EEEEESL_Li16ELi16ELi4ELi4ELi2EddE6NWavesE,comdat
	.weak	_ZN2ck51BlockwiseGemmXdlops_k0mk1_k0nk1_m0n0m1n1m2m3m4n2_v1ILi256EdddKNS_16TensorDescriptorINS_5TupleIJNS_5EmbedINS2_IJNS_17integral_constantIiLi4EEENS4_IiLi128EEENS4_IiLi2EEEEEENS2_IJNS4_IiLi258EEES7_NS4_IiLi1EEEEEELb0EEEEEENS2_IJNS_8SequenceIJLi0EEEEEEENS2_IJNSE_IJLi1ELi2ELi3EEEEEEESH_NS4_IlLl1030EEEEESL_Li16ELi16ELi4ELi4ELi2EddE6NWavesE
	.p2align	2, 0x0
_ZN2ck51BlockwiseGemmXdlops_k0mk1_k0nk1_m0n0m1n1m2m3m4n2_v1ILi256EdddKNS_16TensorDescriptorINS_5TupleIJNS_5EmbedINS2_IJNS_17integral_constantIiLi4EEENS4_IiLi128EEENS4_IiLi2EEEEEENS2_IJNS4_IiLi258EEES7_NS4_IiLi1EEEEEELb0EEEEEENS2_IJNS_8SequenceIJLi0EEEEEEENS2_IJNSE_IJLi1ELi2ELi3EEEEEEESH_NS4_IlLl1030EEEEESL_Li16ELi16ELi4ELi4ELi2EddE6NWavesE:
	.long	2                               ; 0x2
	.size	_ZN2ck51BlockwiseGemmXdlops_k0mk1_k0nk1_m0n0m1n1m2m3m4n2_v1ILi256EdddKNS_16TensorDescriptorINS_5TupleIJNS_5EmbedINS2_IJNS_17integral_constantIiLi4EEENS4_IiLi128EEENS4_IiLi2EEEEEENS2_IJNS4_IiLi258EEES7_NS4_IiLi1EEEEEELb0EEEEEENS2_IJNS_8SequenceIJLi0EEEEEEENS2_IJNSE_IJLi1ELi2ELi3EEEEEEESH_NS4_IlLl1030EEEEESL_Li16ELi16ELi4ELi4ELi2EddE6NWavesE, 4

	.type	__hip_cuid_4dada08f5628ae3c,@object ; @__hip_cuid_4dada08f5628ae3c
	.section	.bss,"aw",@nobits
	.globl	__hip_cuid_4dada08f5628ae3c
__hip_cuid_4dada08f5628ae3c:
	.byte	0                               ; 0x0
	.size	__hip_cuid_4dada08f5628ae3c, 1

	.ident	"AMD clang version 22.0.0git (https://github.com/RadeonOpenCompute/llvm-project roc-7.2.4 26084 f58b06dce1f9c15707c5f808fd002e18c2accf7e)"
	.section	".note.GNU-stack","",@progbits
	.addrsig
	.addrsig_sym __hip_cuid_4dada08f5628ae3c
	.amdgpu_metadata
---
amdhsa.kernels:
  - .agpr_count:     0
    .args:           []
    .group_segment_fixed_size: 0
    .kernarg_segment_align: 4
    .kernarg_segment_size: 0
    .language:       OpenCL C
    .language_version:
      - 2
      - 0
    .max_flat_workgroup_size: 1024
    .name:           _ZN2ckL12flush_icacheEv
    .private_segment_fixed_size: 0
    .sgpr_count:     6
    .sgpr_spill_count: 0
    .symbol:         _ZN2ckL12flush_icacheEv.kd
    .uniform_work_group_size: 1
    .uses_dynamic_stack: false
    .vgpr_count:     0
    .vgpr_spill_count: 0
    .wavefront_size: 64
  - .agpr_count:     0
    .args:
      - .offset:         0
        .size:           80
        .value_kind:     by_value
    .group_segment_fixed_size: 16480
    .kernarg_segment_align: 8
    .kernarg_segment_size: 80
    .language:       OpenCL C
    .language_version:
      - 2
      - 0
    .max_flat_workgroup_size: 256
    .name:           _ZN2ck23kernel_gemm_xdlops_v2r3INS_43GridwiseGemm_k0mk1_k0nk1_mn_xdlops_v2r3_extILi256EdddLNS_25InMemoryDataOperationEnumE0ENS_13tensor_layout4gemm8RowMajorENS4_11ColumnMajorES5_NS_16tensor_operation12element_wise11PassThroughES9_S9_LNS7_6device18GemmSpecializationE0ELi128ELi128ELi4ELi16ELi16ELi2ELi4ELi4ENS_8SequenceIJLi4ELi64ELi1EEEENSC_IJLi1ELi0ELi2EEEESE_Li2ELi2ELi2ELb0ELb1ESD_SE_SE_Li2ELi2ELi2ELb0ELb1ENSC_IJLi0ELi2ELi4ELi5ELi6ELi1ELi3ELi7EEEELi7ELi1ELi1ELNS_13LoopSchedulerE0ELNS_15PipelineVersionE0EEELb1EEEvNT_8ArgumentE
    .private_segment_fixed_size: 0
    .sgpr_count:     32
    .sgpr_spill_count: 0
    .symbol:         _ZN2ck23kernel_gemm_xdlops_v2r3INS_43GridwiseGemm_k0mk1_k0nk1_mn_xdlops_v2r3_extILi256EdddLNS_25InMemoryDataOperationEnumE0ENS_13tensor_layout4gemm8RowMajorENS4_11ColumnMajorES5_NS_16tensor_operation12element_wise11PassThroughES9_S9_LNS7_6device18GemmSpecializationE0ELi128ELi128ELi4ELi16ELi16ELi2ELi4ELi4ENS_8SequenceIJLi4ELi64ELi1EEEENSC_IJLi1ELi0ELi2EEEESE_Li2ELi2ELi2ELb0ELb1ESD_SE_SE_Li2ELi2ELi2ELb0ELb1ENSC_IJLi0ELi2ELi4ELi5ELi6ELi1ELi3ELi7EEEELi7ELi1ELi1ELNS_13LoopSchedulerE0ELNS_15PipelineVersionE0EEELb1EEEvNT_8ArgumentE.kd
    .uniform_work_group_size: 1
    .uses_dynamic_stack: false
    .vgpr_count:     168
    .vgpr_spill_count: 0
    .wavefront_size: 64
  - .agpr_count:     0
    .args:
      - .offset:         0
        .size:           80
        .value_kind:     by_value
    .group_segment_fixed_size: 16480
    .kernarg_segment_align: 8
    .kernarg_segment_size: 80
    .language:       OpenCL C
    .language_version:
      - 2
      - 0
    .max_flat_workgroup_size: 256
    .name:           _ZN2ck23kernel_gemm_xdlops_v2r3INS_43GridwiseGemm_k0mk1_k0nk1_mn_xdlops_v2r3_extILi256EdddLNS_25InMemoryDataOperationEnumE0ENS_13tensor_layout4gemm8RowMajorENS4_11ColumnMajorES5_NS_16tensor_operation12element_wise11PassThroughES9_S9_LNS7_6device18GemmSpecializationE0ELi128ELi128ELi4ELi16ELi16ELi2ELi4ELi4ENS_8SequenceIJLi4ELi64ELi1EEEENSC_IJLi1ELi0ELi2EEEESE_Li2ELi2ELi2ELb0ELb1ESD_SE_SE_Li2ELi2ELi2ELb0ELb1ENSC_IJLi0ELi2ELi4ELi5ELi6ELi1ELi3ELi7EEEELi7ELi1ELi1ELNS_13LoopSchedulerE0ELNS_15PipelineVersionE0EEELb0EEEvNT_8ArgumentE
    .private_segment_fixed_size: 0
    .sgpr_count:     24
    .sgpr_spill_count: 0
    .symbol:         _ZN2ck23kernel_gemm_xdlops_v2r3INS_43GridwiseGemm_k0mk1_k0nk1_mn_xdlops_v2r3_extILi256EdddLNS_25InMemoryDataOperationEnumE0ENS_13tensor_layout4gemm8RowMajorENS4_11ColumnMajorES5_NS_16tensor_operation12element_wise11PassThroughES9_S9_LNS7_6device18GemmSpecializationE0ELi128ELi128ELi4ELi16ELi16ELi2ELi4ELi4ENS_8SequenceIJLi4ELi64ELi1EEEENSC_IJLi1ELi0ELi2EEEESE_Li2ELi2ELi2ELb0ELb1ESD_SE_SE_Li2ELi2ELi2ELb0ELb1ENSC_IJLi0ELi2ELi4ELi5ELi6ELi1ELi3ELi7EEEELi7ELi1ELi1ELNS_13LoopSchedulerE0ELNS_15PipelineVersionE0EEELb0EEEvNT_8ArgumentE.kd
    .uniform_work_group_size: 1
    .uses_dynamic_stack: false
    .vgpr_count:     61
    .vgpr_spill_count: 0
    .wavefront_size: 64
  - .agpr_count:     0
    .args:
      - .offset:         0
        .size:           80
        .value_kind:     by_value
    .group_segment_fixed_size: 0
    .kernarg_segment_align: 8
    .kernarg_segment_size: 80
    .language:       OpenCL C
    .language_version:
      - 2
      - 0
    .max_flat_workgroup_size: 256
    .name:           _ZN2ck23kernel_gemm_xdlops_v2r3INS_43GridwiseGemm_k0mk1_k0nk1_mn_xdlops_v2r3_extILi256EdddLNS_25InMemoryDataOperationEnumE0ENS_13tensor_layout4gemm8RowMajorENS4_11ColumnMajorES5_NS_16tensor_operation12element_wise11PassThroughES9_S9_LNS7_6device18GemmSpecializationE0ELi128ELi128ELi4ELi16ELi16ELi2ELi4ELi2ENS_8SequenceIJLi4ELi64ELi1EEEENSC_IJLi1ELi0ELi2EEEESE_Li2ELi2ELi2ELb0ELb1ESD_SE_SE_Li2ELi2ELi2ELb0ELb1ENSC_IJLi0ELi2ELi4ELi5ELi6ELi1ELi3ELi7EEEELi7ELi1ELi1ELNS_13LoopSchedulerE0ELNS_15PipelineVersionE0EEELb1EEEvNT_8ArgumentE
    .private_segment_fixed_size: 0
    .sgpr_count:     6
    .sgpr_spill_count: 0
    .symbol:         _ZN2ck23kernel_gemm_xdlops_v2r3INS_43GridwiseGemm_k0mk1_k0nk1_mn_xdlops_v2r3_extILi256EdddLNS_25InMemoryDataOperationEnumE0ENS_13tensor_layout4gemm8RowMajorENS4_11ColumnMajorES5_NS_16tensor_operation12element_wise11PassThroughES9_S9_LNS7_6device18GemmSpecializationE0ELi128ELi128ELi4ELi16ELi16ELi2ELi4ELi2ENS_8SequenceIJLi4ELi64ELi1EEEENSC_IJLi1ELi0ELi2EEEESE_Li2ELi2ELi2ELb0ELb1ESD_SE_SE_Li2ELi2ELi2ELb0ELb1ENSC_IJLi0ELi2ELi4ELi5ELi6ELi1ELi3ELi7EEEELi7ELi1ELi1ELNS_13LoopSchedulerE0ELNS_15PipelineVersionE0EEELb1EEEvNT_8ArgumentE.kd
    .uniform_work_group_size: 1
    .uses_dynamic_stack: false
    .vgpr_count:     0
    .vgpr_spill_count: 0
    .wavefront_size: 64
  - .agpr_count:     0
    .args:
      - .offset:         0
        .size:           80
        .value_kind:     by_value
    .group_segment_fixed_size: 0
    .kernarg_segment_align: 8
    .kernarg_segment_size: 80
    .language:       OpenCL C
    .language_version:
      - 2
      - 0
    .max_flat_workgroup_size: 256
    .name:           _ZN2ck23kernel_gemm_xdlops_v2r3INS_43GridwiseGemm_k0mk1_k0nk1_mn_xdlops_v2r3_extILi256EdddLNS_25InMemoryDataOperationEnumE0ENS_13tensor_layout4gemm8RowMajorENS4_11ColumnMajorES5_NS_16tensor_operation12element_wise11PassThroughES9_S9_LNS7_6device18GemmSpecializationE0ELi128ELi128ELi4ELi16ELi16ELi2ELi4ELi2ENS_8SequenceIJLi4ELi64ELi1EEEENSC_IJLi1ELi0ELi2EEEESE_Li2ELi2ELi2ELb0ELb1ESD_SE_SE_Li2ELi2ELi2ELb0ELb1ENSC_IJLi0ELi2ELi4ELi5ELi6ELi1ELi3ELi7EEEELi7ELi1ELi1ELNS_13LoopSchedulerE0ELNS_15PipelineVersionE0EEELb0EEEvNT_8ArgumentE
    .private_segment_fixed_size: 0
    .sgpr_count:     6
    .sgpr_spill_count: 0
    .symbol:         _ZN2ck23kernel_gemm_xdlops_v2r3INS_43GridwiseGemm_k0mk1_k0nk1_mn_xdlops_v2r3_extILi256EdddLNS_25InMemoryDataOperationEnumE0ENS_13tensor_layout4gemm8RowMajorENS4_11ColumnMajorES5_NS_16tensor_operation12element_wise11PassThroughES9_S9_LNS7_6device18GemmSpecializationE0ELi128ELi128ELi4ELi16ELi16ELi2ELi4ELi2ENS_8SequenceIJLi4ELi64ELi1EEEENSC_IJLi1ELi0ELi2EEEESE_Li2ELi2ELi2ELb0ELb1ESD_SE_SE_Li2ELi2ELi2ELb0ELb1ENSC_IJLi0ELi2ELi4ELi5ELi6ELi1ELi3ELi7EEEELi7ELi1ELi1ELNS_13LoopSchedulerE0ELNS_15PipelineVersionE0EEELb0EEEvNT_8ArgumentE.kd
    .uniform_work_group_size: 1
    .uses_dynamic_stack: false
    .vgpr_count:     0
    .vgpr_spill_count: 0
    .wavefront_size: 64
  - .agpr_count:     0
    .args:
      - .actual_access:  read_only
        .address_space:  global
        .offset:         0
        .size:           8
        .value_kind:     global_buffer
      - .actual_access:  read_only
        .address_space:  global
        .offset:         8
        .size:           8
        .value_kind:     global_buffer
      - .actual_access:  write_only
        .address_space:  global
        .offset:         16
        .size:           8
        .value_kind:     global_buffer
      - .offset:         24
        .size:           4
        .value_kind:     by_value
      - .offset:         28
        .size:           4
        .value_kind:     by_value
      - .offset:         32
        .size:           4
        .value_kind:     by_value
      - .offset:         36
        .size:           1
        .value_kind:     by_value
      - .offset:         37
        .size:           1
        .value_kind:     by_value
      - .offset:         38
        .size:           1
        .value_kind:     by_value
      - .offset:         40
        .size:           4
        .value_kind:     hidden_block_count_x
      - .offset:         44
        .size:           4
        .value_kind:     hidden_block_count_y
      - .offset:         48
        .size:           4
        .value_kind:     hidden_block_count_z
      - .offset:         52
        .size:           2
        .value_kind:     hidden_group_size_x
      - .offset:         54
        .size:           2
        .value_kind:     hidden_group_size_y
      - .offset:         56
        .size:           2
        .value_kind:     hidden_group_size_z
      - .offset:         58
        .size:           2
        .value_kind:     hidden_remainder_x
      - .offset:         60
        .size:           2
        .value_kind:     hidden_remainder_y
      - .offset:         62
        .size:           2
        .value_kind:     hidden_remainder_z
      - .offset:         80
        .size:           8
        .value_kind:     hidden_global_offset_x
      - .offset:         88
        .size:           8
        .value_kind:     hidden_global_offset_y
      - .offset:         96
        .size:           8
        .value_kind:     hidden_global_offset_z
      - .offset:         104
        .size:           2
        .value_kind:     hidden_grid_dims
    .group_segment_fixed_size: 0
    .kernarg_segment_align: 8
    .kernarg_segment_size: 296
    .language:       OpenCL C
    .language_version:
      - 2
      - 0
    .max_flat_workgroup_size: 256
    .name:           _ZN2ck17naive_gemm_kernelINS_13tensor_layout4gemm8RowMajorENS2_11ColumnMajorES3_ddddNS_16tensor_operation12element_wise11PassThroughES7_S7_ddEEvPKT2_PKT3_PT4_iiiT6_T7_T8_
    .private_segment_fixed_size: 0
    .sgpr_count:     18
    .sgpr_spill_count: 0
    .symbol:         _ZN2ck17naive_gemm_kernelINS_13tensor_layout4gemm8RowMajorENS2_11ColumnMajorES3_ddddNS_16tensor_operation12element_wise11PassThroughES7_S7_ddEEvPKT2_PKT3_PT4_iiiT6_T7_T8_.kd
    .uniform_work_group_size: 1
    .uses_dynamic_stack: false
    .vgpr_count:     12
    .vgpr_spill_count: 0
    .wavefront_size: 64
amdhsa.target:   amdgcn-amd-amdhsa--gfx950
amdhsa.version:
  - 1
  - 2
...

	.end_amdgpu_metadata
